;; amdgpu-corpus repo=ROCm/rocFFT kind=compiled arch=gfx906 opt=O3
	.text
	.amdgcn_target "amdgcn-amd-amdhsa--gfx906"
	.amdhsa_code_object_version 6
	.protected	fft_rtc_back_len975_factors_13_5_3_5_wgs_117_tpt_39_halfLds_half_op_CI_CI_unitstride_sbrr_dirReg ; -- Begin function fft_rtc_back_len975_factors_13_5_3_5_wgs_117_tpt_39_halfLds_half_op_CI_CI_unitstride_sbrr_dirReg
	.globl	fft_rtc_back_len975_factors_13_5_3_5_wgs_117_tpt_39_halfLds_half_op_CI_CI_unitstride_sbrr_dirReg
	.p2align	8
	.type	fft_rtc_back_len975_factors_13_5_3_5_wgs_117_tpt_39_halfLds_half_op_CI_CI_unitstride_sbrr_dirReg,@function
fft_rtc_back_len975_factors_13_5_3_5_wgs_117_tpt_39_halfLds_half_op_CI_CI_unitstride_sbrr_dirReg: ; @fft_rtc_back_len975_factors_13_5_3_5_wgs_117_tpt_39_halfLds_half_op_CI_CI_unitstride_sbrr_dirReg
; %bb.0:
	v_mul_u32_u24_e32 v1, 0x691, v0
	s_load_dwordx4 s[8:11], s[4:5], 0x58
	s_load_dwordx4 s[12:15], s[4:5], 0x0
	;; [unrolled: 1-line block ×3, first 2 shown]
	v_lshrrev_b32_e32 v1, 16, v1
	v_mad_u64_u32 v[5:6], s[0:1], s6, 3, v[1:2]
	v_mov_b32_e32 v9, 0
	s_waitcnt lgkmcnt(0)
	v_cmp_lt_u64_e64 s[0:1], s[14:15], 2
	v_mov_b32_e32 v7, 0
	v_mov_b32_e32 v6, v9
	;; [unrolled: 1-line block ×5, first 2 shown]
	s_and_b64 vcc, exec, s[0:1]
	v_mov_b32_e32 v2, v8
	v_mov_b32_e32 v4, v6
	s_cbranch_vccnz .LBB0_8
; %bb.1:
	s_load_dwordx2 s[0:1], s[4:5], 0x10
	s_add_u32 s2, s18, 8
	s_addc_u32 s3, s19, 0
	s_add_u32 s6, s16, 8
	s_addc_u32 s7, s17, 0
	v_mov_b32_e32 v7, 0
	s_waitcnt lgkmcnt(0)
	s_add_u32 s20, s0, 8
	v_mov_b32_e32 v8, 0
	v_mov_b32_e32 v1, v7
	;; [unrolled: 1-line block ×3, first 2 shown]
	s_addc_u32 s21, s1, 0
	s_mov_b64 s[22:23], 1
	v_mov_b32_e32 v2, v8
	v_mov_b32_e32 v11, v5
.LBB0_2:                                ; =>This Inner Loop Header: Depth=1
	s_load_dwordx2 s[24:25], s[20:21], 0x0
                                        ; implicit-def: $vgpr3_vgpr4
	s_waitcnt lgkmcnt(0)
	v_or_b32_e32 v10, s25, v12
	v_cmp_ne_u64_e32 vcc, 0, v[9:10]
	s_and_saveexec_b64 s[0:1], vcc
	s_xor_b64 s[26:27], exec, s[0:1]
	s_cbranch_execz .LBB0_4
; %bb.3:                                ;   in Loop: Header=BB0_2 Depth=1
	v_cvt_f32_u32_e32 v3, s24
	v_cvt_f32_u32_e32 v4, s25
	s_sub_u32 s0, 0, s24
	s_subb_u32 s1, 0, s25
	v_mac_f32_e32 v3, 0x4f800000, v4
	v_rcp_f32_e32 v3, v3
	v_mul_f32_e32 v3, 0x5f7ffffc, v3
	v_mul_f32_e32 v4, 0x2f800000, v3
	v_trunc_f32_e32 v4, v4
	v_mac_f32_e32 v3, 0xcf800000, v4
	v_cvt_u32_f32_e32 v4, v4
	v_cvt_u32_f32_e32 v3, v3
	v_mul_lo_u32 v6, s0, v4
	v_mul_hi_u32 v10, s0, v3
	v_mul_lo_u32 v14, s1, v3
	v_mul_lo_u32 v13, s0, v3
	v_add_u32_e32 v6, v10, v6
	v_add_u32_e32 v6, v6, v14
	v_mul_hi_u32 v10, v3, v13
	v_mul_lo_u32 v14, v3, v6
	v_mul_hi_u32 v16, v3, v6
	v_mul_hi_u32 v15, v4, v13
	v_mul_lo_u32 v13, v4, v13
	v_mul_hi_u32 v17, v4, v6
	v_add_co_u32_e32 v10, vcc, v10, v14
	v_addc_co_u32_e32 v14, vcc, 0, v16, vcc
	v_mul_lo_u32 v6, v4, v6
	v_add_co_u32_e32 v10, vcc, v10, v13
	v_addc_co_u32_e32 v10, vcc, v14, v15, vcc
	v_addc_co_u32_e32 v13, vcc, 0, v17, vcc
	v_add_co_u32_e32 v6, vcc, v10, v6
	v_addc_co_u32_e32 v10, vcc, 0, v13, vcc
	v_add_co_u32_e32 v3, vcc, v3, v6
	v_addc_co_u32_e32 v4, vcc, v4, v10, vcc
	v_mul_lo_u32 v6, s0, v4
	v_mul_hi_u32 v10, s0, v3
	v_mul_lo_u32 v13, s1, v3
	v_mul_lo_u32 v14, s0, v3
	v_add_u32_e32 v6, v10, v6
	v_add_u32_e32 v6, v6, v13
	v_mul_lo_u32 v15, v3, v6
	v_mul_hi_u32 v16, v3, v14
	v_mul_hi_u32 v17, v3, v6
	;; [unrolled: 1-line block ×3, first 2 shown]
	v_mul_lo_u32 v14, v4, v14
	v_mul_hi_u32 v10, v4, v6
	v_add_co_u32_e32 v15, vcc, v16, v15
	v_addc_co_u32_e32 v16, vcc, 0, v17, vcc
	v_mul_lo_u32 v6, v4, v6
	v_add_co_u32_e32 v14, vcc, v15, v14
	v_addc_co_u32_e32 v13, vcc, v16, v13, vcc
	v_addc_co_u32_e32 v10, vcc, 0, v10, vcc
	v_add_co_u32_e32 v6, vcc, v13, v6
	v_addc_co_u32_e32 v10, vcc, 0, v10, vcc
	v_add_co_u32_e32 v6, vcc, v3, v6
	v_addc_co_u32_e32 v10, vcc, v4, v10, vcc
	v_mad_u64_u32 v[3:4], s[0:1], v11, v10, 0
	v_mul_hi_u32 v13, v11, v6
	v_add_co_u32_e32 v15, vcc, v13, v3
	v_addc_co_u32_e32 v16, vcc, 0, v4, vcc
	v_mad_u64_u32 v[3:4], s[0:1], v12, v6, 0
	v_mad_u64_u32 v[13:14], s[0:1], v12, v10, 0
	v_add_co_u32_e32 v3, vcc, v15, v3
	v_addc_co_u32_e32 v3, vcc, v16, v4, vcc
	v_addc_co_u32_e32 v4, vcc, 0, v14, vcc
	v_add_co_u32_e32 v6, vcc, v3, v13
	v_addc_co_u32_e32 v10, vcc, 0, v4, vcc
	v_mul_lo_u32 v13, s25, v6
	v_mul_lo_u32 v14, s24, v10
	v_mad_u64_u32 v[3:4], s[0:1], s24, v6, 0
	v_add3_u32 v4, v4, v14, v13
	v_sub_u32_e32 v13, v12, v4
	v_mov_b32_e32 v14, s25
	v_sub_co_u32_e32 v3, vcc, v11, v3
	v_subb_co_u32_e64 v13, s[0:1], v13, v14, vcc
	v_subrev_co_u32_e64 v14, s[0:1], s24, v3
	v_subbrev_co_u32_e64 v13, s[0:1], 0, v13, s[0:1]
	v_cmp_le_u32_e64 s[0:1], s25, v13
	v_cndmask_b32_e64 v15, 0, -1, s[0:1]
	v_cmp_le_u32_e64 s[0:1], s24, v14
	v_cndmask_b32_e64 v14, 0, -1, s[0:1]
	v_cmp_eq_u32_e64 s[0:1], s25, v13
	v_cndmask_b32_e64 v13, v15, v14, s[0:1]
	v_add_co_u32_e64 v14, s[0:1], 2, v6
	v_addc_co_u32_e64 v15, s[0:1], 0, v10, s[0:1]
	v_add_co_u32_e64 v16, s[0:1], 1, v6
	v_addc_co_u32_e64 v17, s[0:1], 0, v10, s[0:1]
	v_subb_co_u32_e32 v4, vcc, v12, v4, vcc
	v_cmp_ne_u32_e64 s[0:1], 0, v13
	v_cmp_le_u32_e32 vcc, s25, v4
	v_cndmask_b32_e64 v13, v17, v15, s[0:1]
	v_cndmask_b32_e64 v15, 0, -1, vcc
	v_cmp_le_u32_e32 vcc, s24, v3
	v_cndmask_b32_e64 v3, 0, -1, vcc
	v_cmp_eq_u32_e32 vcc, s25, v4
	v_cndmask_b32_e32 v3, v15, v3, vcc
	v_cmp_ne_u32_e32 vcc, 0, v3
	v_cndmask_b32_e64 v3, v16, v14, s[0:1]
	v_cndmask_b32_e32 v4, v10, v13, vcc
	v_cndmask_b32_e32 v3, v6, v3, vcc
.LBB0_4:                                ;   in Loop: Header=BB0_2 Depth=1
	s_andn2_saveexec_b64 s[0:1], s[26:27]
	s_cbranch_execz .LBB0_6
; %bb.5:                                ;   in Loop: Header=BB0_2 Depth=1
	v_cvt_f32_u32_e32 v3, s24
	s_sub_i32 s26, 0, s24
	v_rcp_iflag_f32_e32 v3, v3
	v_mul_f32_e32 v3, 0x4f7ffffe, v3
	v_cvt_u32_f32_e32 v3, v3
	v_mul_lo_u32 v4, s26, v3
	v_mul_hi_u32 v4, v3, v4
	v_add_u32_e32 v3, v3, v4
	v_mul_hi_u32 v3, v11, v3
	v_mul_lo_u32 v4, v3, s24
	v_add_u32_e32 v6, 1, v3
	v_sub_u32_e32 v4, v11, v4
	v_subrev_u32_e32 v10, s24, v4
	v_cmp_le_u32_e32 vcc, s24, v4
	v_cndmask_b32_e32 v4, v4, v10, vcc
	v_cndmask_b32_e32 v3, v3, v6, vcc
	v_add_u32_e32 v6, 1, v3
	v_cmp_le_u32_e32 vcc, s24, v4
	v_cndmask_b32_e32 v3, v3, v6, vcc
	v_mov_b32_e32 v4, v9
.LBB0_6:                                ;   in Loop: Header=BB0_2 Depth=1
	s_or_b64 exec, exec, s[0:1]
	v_mul_lo_u32 v6, v4, s24
	v_mul_lo_u32 v10, v3, s25
	v_mad_u64_u32 v[13:14], s[0:1], v3, s24, 0
	s_load_dwordx2 s[0:1], s[6:7], 0x0
	s_load_dwordx2 s[24:25], s[2:3], 0x0
	v_add3_u32 v6, v14, v10, v6
	v_sub_co_u32_e32 v10, vcc, v11, v13
	v_subb_co_u32_e32 v6, vcc, v12, v6, vcc
	s_waitcnt lgkmcnt(0)
	v_mul_lo_u32 v11, s0, v6
	v_mul_lo_u32 v12, s1, v10
	v_mad_u64_u32 v[7:8], s[0:1], s0, v10, v[7:8]
	s_add_u32 s22, s22, 1
	s_addc_u32 s23, s23, 0
	s_add_u32 s2, s2, 8
	v_mul_lo_u32 v6, s24, v6
	v_mul_lo_u32 v13, s25, v10
	v_mad_u64_u32 v[1:2], s[0:1], s24, v10, v[1:2]
	v_add3_u32 v8, v12, v8, v11
	s_addc_u32 s3, s3, 0
	v_mov_b32_e32 v10, s14
	s_add_u32 s6, s6, 8
	v_mov_b32_e32 v11, s15
	s_addc_u32 s7, s7, 0
	v_cmp_ge_u64_e32 vcc, s[22:23], v[10:11]
	s_add_u32 s20, s20, 8
	v_add3_u32 v2, v13, v2, v6
	s_addc_u32 s21, s21, 0
	s_cbranch_vccnz .LBB0_8
; %bb.7:                                ;   in Loop: Header=BB0_2 Depth=1
	v_mov_b32_e32 v12, v4
	v_mov_b32_e32 v11, v3
	s_branch .LBB0_2
.LBB0_8:
	s_load_dwordx2 s[0:1], s[4:5], 0x28
	s_lshl_b64 s[6:7], s[14:15], 3
	s_add_u32 s4, s18, s6
	s_addc_u32 s5, s19, s7
                                        ; implicit-def: $sgpr14
                                        ; implicit-def: $vgpr9
	s_waitcnt lgkmcnt(0)
	v_cmp_gt_u64_e32 vcc, s[0:1], v[3:4]
	v_cmp_le_u64_e64 s[0:1], s[0:1], v[3:4]
	s_and_saveexec_b64 s[2:3], s[0:1]
	s_xor_b64 s[0:1], exec, s[2:3]
; %bb.9:
	s_mov_b32 s2, 0x6906907
	v_mul_hi_u32 v6, v0, s2
	s_mov_b32 s14, 0
                                        ; implicit-def: $vgpr7_vgpr8
	v_mul_u32_u24_e32 v6, 39, v6
	v_sub_u32_e32 v9, v0, v6
                                        ; implicit-def: $vgpr0
; %bb.10:
	s_or_saveexec_b64 s[2:3], s[0:1]
	s_load_dwordx2 s[4:5], s[4:5], 0x0
	v_mov_b32_e32 v10, s14
	v_mov_b32_e32 v48, s14
                                        ; implicit-def: $vgpr6
                                        ; implicit-def: $vgpr51
                                        ; implicit-def: $vgpr49
                                        ; implicit-def: $vgpr28
                                        ; implicit-def: $vgpr50
                                        ; implicit-def: $vgpr30
                                        ; implicit-def: $vgpr52
                                        ; implicit-def: $vgpr31
                                        ; implicit-def: $vgpr53
                                        ; implicit-def: $vgpr33
                                        ; implicit-def: $vgpr54
                                        ; implicit-def: $vgpr34
                                        ; implicit-def: $vgpr55
                                        ; implicit-def: $vgpr35
                                        ; implicit-def: $vgpr11
                                        ; implicit-def: $vgpr13
                                        ; implicit-def: $vgpr15
                                        ; implicit-def: $vgpr14
                                        ; implicit-def: $vgpr16
                                        ; implicit-def: $vgpr26
                                        ; implicit-def: $vgpr17
                                        ; implicit-def: $vgpr27
                                        ; implicit-def: $vgpr18
                                        ; implicit-def: $vgpr29
                                        ; implicit-def: $vgpr19
                                        ; implicit-def: $vgpr32
                                        ; implicit-def: $vgpr25
                                        ; implicit-def: $vgpr41
                                        ; implicit-def: $vgpr20
                                        ; implicit-def: $vgpr40
                                        ; implicit-def: $vgpr21
                                        ; implicit-def: $vgpr39
                                        ; implicit-def: $vgpr22
                                        ; implicit-def: $vgpr38
                                        ; implicit-def: $vgpr23
                                        ; implicit-def: $vgpr37
                                        ; implicit-def: $vgpr24
                                        ; implicit-def: $vgpr36
                                        ; implicit-def: $vgpr61
                                        ; implicit-def: $vgpr47
                                        ; implicit-def: $vgpr60
                                        ; implicit-def: $vgpr46
                                        ; implicit-def: $vgpr59
                                        ; implicit-def: $vgpr45
                                        ; implicit-def: $vgpr58
                                        ; implicit-def: $vgpr44
                                        ; implicit-def: $vgpr57
                                        ; implicit-def: $vgpr43
                                        ; implicit-def: $vgpr56
                                        ; implicit-def: $vgpr42
	s_xor_b64 exec, exec, s[2:3]
	s_cbranch_execz .LBB0_14
; %bb.11:
	s_add_u32 s0, s16, s6
	s_addc_u32 s1, s17, s7
	s_load_dwordx2 s[0:1], s[0:1], 0x0
	s_mov_b32 s6, 0x6906907
	v_mul_hi_u32 v6, v0, s6
	v_mov_b32_e32 v48, 0
                                        ; implicit-def: $vgpr36
                                        ; implicit-def: $vgpr24
                                        ; implicit-def: $vgpr37
                                        ; implicit-def: $vgpr23
                                        ; implicit-def: $vgpr38
                                        ; implicit-def: $vgpr22
                                        ; implicit-def: $vgpr39
                                        ; implicit-def: $vgpr21
                                        ; implicit-def: $vgpr40
                                        ; implicit-def: $vgpr20
                                        ; implicit-def: $vgpr41
                                        ; implicit-def: $vgpr25
                                        ; implicit-def: $vgpr32
                                        ; implicit-def: $vgpr19
                                        ; implicit-def: $vgpr29
                                        ; implicit-def: $vgpr18
                                        ; implicit-def: $vgpr27
                                        ; implicit-def: $vgpr17
                                        ; implicit-def: $vgpr26
                                        ; implicit-def: $vgpr16
                                        ; implicit-def: $vgpr14
                                        ; implicit-def: $vgpr15
	s_waitcnt lgkmcnt(0)
	v_mul_lo_u32 v12, s1, v3
	v_mul_lo_u32 v13, s0, v4
	v_mad_u64_u32 v[10:11], s[0:1], s0, v3, 0
	v_mul_u32_u24_e32 v6, 39, v6
	v_sub_u32_e32 v9, v0, v6
	v_add3_u32 v11, v11, v13, v12
	v_lshlrev_b64 v[10:11], 2, v[10:11]
	v_mov_b32_e32 v0, s9
	v_add_co_u32_e64 v10, s[0:1], s8, v10
	v_lshlrev_b64 v[6:7], 2, v[7:8]
	v_addc_co_u32_e64 v0, s[0:1], v0, v11, s[0:1]
	v_add_co_u32_e64 v6, s[0:1], v10, v6
	v_addc_co_u32_e64 v0, s[0:1], v0, v7, s[0:1]
	v_lshlrev_b32_e32 v7, 2, v9
	v_add_co_u32_e64 v6, s[0:1], v6, v7
	v_addc_co_u32_e64 v7, s[0:1], 0, v0, s[0:1]
	global_load_dword v51, v[6:7], off
	global_load_dword v28, v[6:7], off offset:300
	global_load_dword v30, v[6:7], off offset:600
	;; [unrolled: 1-line block ×12, first 2 shown]
	v_cmp_gt_u32_e64 s[0:1], 36, v9
	v_mov_b32_e32 v10, 0
                                        ; implicit-def: $vgpr13
                                        ; implicit-def: $vgpr11
	s_and_saveexec_b64 s[6:7], s[0:1]
	s_cbranch_execz .LBB0_13
; %bb.12:
	global_load_dword v48, v[6:7], off offset:156
	global_load_dword v13, v[6:7], off offset:456
	;; [unrolled: 1-line block ×13, first 2 shown]
	s_waitcnt vmcnt(12)
	v_lshrrev_b32_e32 v10, 16, v48
	s_waitcnt vmcnt(11)
	v_lshrrev_b32_e32 v11, 16, v13
	;; [unrolled: 2-line block ×13, first 2 shown]
.LBB0_13:
	s_or_b64 exec, exec, s[6:7]
	s_waitcnt vmcnt(12)
	v_lshrrev_b32_e32 v6, 16, v51
	s_waitcnt vmcnt(11)
	v_lshrrev_b32_e32 v49, 16, v28
	;; [unrolled: 2-line block ×13, first 2 shown]
.LBB0_14:
	s_or_b64 exec, exec, s[2:3]
	s_mov_b32 s0, 0xaaaaaaab
	v_mul_hi_u32 v0, v5, s0
	v_sub_f16_e32 v8, v49, v61
	s_mov_b32 s16, 0xba95b770
	v_add_f16_e32 v7, v47, v28
	v_lshrrev_b32_e32 v0, 1, v0
	v_lshl_add_u32 v0, v0, 1, v0
	v_sub_u32_e32 v0, v5, v0
	v_sub_f16_e32 v5, v50, v60
	s_mov_b32 s6, 0x388b3b15
	v_pk_mul_f16 v67, v8, s16 op_sel_hi:[0,1]
	s_mov_b32 s17, 0xbb7bba95
	v_add_f16_e32 v12, v46, v30
	v_pk_fma_f16 v62, v7, s6, v67 op_sel_hi:[0,1,1]
	s_mov_b32 s7, 0xb5ac388b
	v_pk_mul_f16 v68, v5, s17 op_sel_hi:[0,1]
	s_mov_b32 s18, 0xb3a8bbf1
	v_sub_f16_e32 v65, v52, v59
	v_pk_add_f16 v62, v62, v51 op_sel_hi:[1,0]
	v_pk_fma_f16 v63, v12, s7, v68 op_sel_hi:[0,1,1]
	v_add_f16_e32 v69, v45, v31
	s_mov_b32 s8, 0xbbc42fb7
	v_pk_mul_f16 v70, v65, s18 op_sel_hi:[0,1]
	s_mov_b32 s19, 0x394ebb7b
	v_sub_f16_e32 v66, v53, v58
	v_pk_add_f16 v62, v62, v63
	v_pk_fma_f16 v63, v69, s8, v70 op_sel_hi:[0,1,1]
	s_mov_b32 s9, 0xb9fdb5ac
	v_add_f16_e32 v71, v44, v33
	v_pk_mul_f16 v72, v66, s19 op_sel_hi:[0,1]
	s_mov_b32 s20, 0x3bf1b94e
	v_sub_f16_e32 v74, v54, v57
	v_pk_add_f16 v62, v62, v63
	v_pk_fma_f16 v63, v71, s9, v72 op_sel_hi:[0,1,1]
	s_mov_b32 s14, 0x2fb7b9fd
	v_add_f16_e32 v73, v43, v34
	v_pk_mul_f16 v75, v74, s20 op_sel_hi:[0,1]
	s_mov_b32 s33, 0xbb7bbbf1
	v_pk_add_f16 v62, v62, v63
	v_pk_fma_f16 v63, v73, s14, v75 op_sel_hi:[0,1,1]
	s_mov_b32 s22, 0xb5ac2fb7
	v_pk_mul_f16 v76, v8, s33 op_sel_hi:[0,1]
	s_mov_b32 s35, 0x394eb3a8
	v_pk_add_f16 v62, v62, v63
	v_pk_fma_f16 v63, v7, s22, v76 op_sel_hi:[0,1,1]
	s_mov_b32 s23, 0xb9fdbbc4
	v_pk_mul_f16 v77, v5, s35 op_sel_hi:[0,1]
	s_mov_b32 s37, 0x37703b7b
	v_pk_add_f16 v63, v63, v51 op_sel_hi:[1,0]
	v_pk_fma_f16 v64, v12, s23, v77 op_sel_hi:[0,1,1]
	s_mov_b32 s24, 0x3b15b5ac
	v_pk_mul_f16 v78, v65, s37 op_sel_hi:[0,1]
	s_mov_b32 s38, 0xbbf13770
	v_pk_add_f16 v63, v63, v64
	v_pk_fma_f16 v64, v69, s24, v78 op_sel_hi:[0,1,1]
	s_mov_b32 s26, 0x2fb73b15
	v_pk_mul_f16 v79, v66, s38 op_sel_hi:[0,1]
	s_mov_b32 s40, 0x33a8ba95
	v_pk_add_f16 v63, v63, v64
	v_pk_fma_f16 v64, v71, s26, v79 op_sel_hi:[0,1,1]
	s_mov_b32 s28, 0xbbc4388b
	v_pk_mul_f16 v80, v74, s40 op_sel_hi:[0,1]
	s_mov_b32 s21, 0x3770b3a8
	v_sub_f16_e32 v82, v55, v56
	v_pk_add_f16 v63, v63, v64
	v_pk_fma_f16 v64, v73, s28, v80 op_sel_hi:[0,1,1]
	s_mov_b32 s15, 0x3b15bbc4
	s_mov_b32 s43, 0x3a95b94e
	v_add_f16_e32 v81, v42, v35
	v_pk_mul_f16 v83, v82, s21 op_sel_hi:[0,1]
	s_mov_b32 s39, 0xb3a8b94e
	v_pk_add_f16 v64, v63, v64
	s_mov_b32 s31, 0x388bb9fd
	v_pk_fma_f16 v63, v81, s15, v83 op_sel_hi:[0,1,1]
	v_pk_mul_f16 v84, v82, s43 op_sel_hi:[0,1]
	s_mov_b32 s25, 0xbbc4b9fd
	v_pk_mul_f16 v8, v8, s39 op_sel_hi:[0,1]
	s_mov_b32 s41, 0x37703bf1
	v_pk_fma_f16 v85, v81, s31, v84 op_sel_hi:[0,1,1]
	v_pk_add_f16 v63, v62, v63
	v_pk_fma_f16 v62, v7, s25, v8 op_sel_hi:[0,1,1]
	s_mov_b32 s27, 0x3b152fb7
	v_pk_mul_f16 v5, v5, s41 op_sel_hi:[0,1]
	v_pk_add_f16 v64, v64, v85
	v_pk_add_f16 v62, v62, v51 op_sel_hi:[1,0]
	v_pk_fma_f16 v85, v12, s27, v5 op_sel_hi:[0,1,1]
	s_mov_b32 s42, 0xb94eba95
	v_pk_fma_f16 v8, v7, s25, v8 op_sel_hi:[0,1,1] neg_lo:[0,0,1] neg_hi:[0,0,1]
	v_pk_add_f16 v62, v62, v85
	s_mov_b32 s29, 0xb9fd388b
	v_pk_mul_f16 v85, v65, s42 op_sel_hi:[0,1]
	s_mov_b32 s44, 0x3a9533a8
	v_pk_add_f16 v8, v8, v51 op_sel_hi:[1,0]
	v_pk_fma_f16 v5, v12, s27, v5 op_sel_hi:[0,1,1] neg_lo:[0,0,1] neg_hi:[0,0,1]
	s_mov_b32 s30, 0x388bbbc4
	v_pk_mul_f16 v66, v66, s44 op_sel_hi:[0,1]
	s_mov_b32 s45, 0xbb7b3770
	v_pk_add_f16 v5, v8, v5
	v_pk_fma_f16 v8, v69, s29, v85 op_sel_hi:[0,1,1] neg_lo:[0,0,1] neg_hi:[0,0,1]
	s_mov_b32 s34, 0xb5ac3b15
	v_pk_mul_f16 v74, v74, s45 op_sel_hi:[0,1]
	s_mov_b32 s46, 0x3bf1bb7b
	v_pk_add_f16 v5, v5, v8
	v_pk_fma_f16 v8, v71, s30, v66 op_sel_hi:[0,1,1] neg_lo:[0,0,1] neg_hi:[0,0,1]
	v_pk_fma_f16 v65, v69, s29, v85 op_sel_hi:[0,1,1]
	s_mov_b32 s36, 0x2fb7b5ac
	v_pk_mul_f16 v82, v82, s46 op_sel_hi:[0,1]
	v_pk_add_f16 v5, v5, v8
	v_pk_fma_f16 v8, v73, s34, v74 op_sel_hi:[0,1,1] neg_lo:[0,0,1] neg_hi:[0,0,1]
	v_pk_add_f16 v62, v62, v65
	v_pk_fma_f16 v65, v71, s30, v66 op_sel_hi:[0,1,1]
	v_pk_add_f16 v5, v5, v8
	v_pk_fma_f16 v8, v81, s36, v82 op_sel_hi:[0,1,1] neg_lo:[0,0,1] neg_hi:[0,0,1]
	v_pk_add_f16 v62, v62, v65
	v_pk_fma_f16 v65, v73, s34, v74 op_sel_hi:[0,1,1]
	v_pk_add_f16 v5, v5, v8
	v_pk_add_f16 v62, v62, v65
	v_pk_fma_f16 v65, v81, s36, v82 op_sel_hi:[0,1,1]
	v_alignbit_b32 v66, v5, v5, 16
	v_mul_u32_u24_e32 v0, 0x3cf, v0
	v_mad_u32_u24 v5, v9, 26, 0
	v_pk_add_f16 v65, v62, v65
	v_lshl_add_u32 v62, v0, 1, v5
	v_pk_fma_f16 v5, v7, s22, v76 op_sel_hi:[0,1,1] neg_lo:[0,0,1] neg_hi:[0,0,1]
	v_pk_add_f16 v5, v5, v51 op_sel_hi:[1,0]
	v_pk_fma_f16 v8, v12, s23, v77 op_sel_hi:[0,1,1] neg_lo:[0,0,1] neg_hi:[0,0,1]
	v_pk_add_f16 v5, v5, v8
	v_pk_fma_f16 v8, v69, s24, v78 op_sel_hi:[0,1,1] neg_lo:[0,0,1] neg_hi:[0,0,1]
	v_pk_add_f16 v5, v5, v8
	;; [unrolled: 2-line block ×5, first 2 shown]
	v_pk_fma_f16 v5, v7, s6, v67 op_sel_hi:[0,1,1] neg_lo:[0,0,1] neg_hi:[0,0,1]
	v_pk_fma_f16 v7, v12, s7, v68 op_sel_hi:[0,1,1] neg_lo:[0,0,1] neg_hi:[0,0,1]
	v_pk_add_f16 v5, v5, v51 op_sel_hi:[1,0]
	v_pk_add_f16 v5, v5, v7
	v_pk_fma_f16 v7, v69, s8, v70 op_sel_hi:[0,1,1] neg_lo:[0,0,1] neg_hi:[0,0,1]
	v_pk_add_f16 v5, v5, v7
	v_pk_fma_f16 v7, v71, s9, v72 op_sel_hi:[0,1,1] neg_lo:[0,0,1] neg_hi:[0,0,1]
	;; [unrolled: 2-line block ×3, first 2 shown]
	v_sub_f16_e32 v72, v11, v25
	v_pk_add_f16 v7, v7, v12
	v_pk_fma_f16 v12, v81, s15, v83 op_sel_hi:[0,1,1] neg_lo:[0,0,1] neg_hi:[0,0,1]
	ds_write_b128 v62, v[63:66] offset:2
	v_add_f16_e32 v5, v13, v41
	s_movk_i32 s47, 0x3b15
	v_mul_f16_e32 v66, 0xb770, v72
	v_pk_add_f16 v7, v7, v12
	v_sub_f16_e32 v73, v15, v20
	v_add_f16_e32 v51, v51, v28
	v_fma_f16 v63, v5, s47, -v66
	v_alignbit_b32 v64, v7, v7, 16
	v_add_f16_e32 v7, v14, v40
	s_movk_i32 s49, 0x388b
	v_mul_f16_e32 v67, 0xba95, v73
	v_add_f16_e32 v51, v51, v30
	v_add_f16_e32 v65, v48, v63
	v_alignbit_b32 v63, v8, v8, 16
	v_fma_f16 v8, v7, s49, -v67
	v_sub_f16_e32 v74, v16, v21
	v_add_f16_e32 v51, v51, v31
	v_add_f16_e32 v12, v65, v8
	s_movk_i32 s48, 0x2fb7
	v_add_f16_e32 v8, v26, v39
	v_mul_f16_e32 v68, 0xbbf1, v74
	v_add_f16_e32 v51, v51, v33
	ds_write_b64 v62, v[63:64] offset:18
	v_fma_f16 v63, v8, s48, -v68
	v_sub_f16_e32 v75, v17, v22
	v_add_f16_e32 v51, v51, v34
	v_add_f16_e32 v12, v12, v63
	s_mov_b32 s51, 0xb5ac
	v_add_f16_e32 v63, v27, v38
	v_mul_f16_e32 v69, 0xbb7b, v75
	v_add_f16_e32 v51, v51, v35
	v_fma_f16 v64, v63, s51, -v69
	v_sub_f16_e32 v76, v18, v23
	v_add_f16_e32 v51, v51, v42
	v_add_f16_e32 v12, v12, v64
	s_mov_b32 s50, 0xb9fd
	v_add_f16_e32 v64, v29, v37
	v_mul_f16_e32 v70, 0xb94e, v76
	v_add_f16_e32 v51, v43, v51
	;; [unrolled: 8-line block ×3, first 2 shown]
	v_fma_f16 v78, v65, s52, -v71
	v_add_f16_e32 v51, v46, v51
	v_add_f16_e32 v12, v12, v78
	;; [unrolled: 1-line block ×3, first 2 shown]
	v_cmp_gt_u32_e64 s[0:1], 36, v9
	ds_write_b16 v62, v51
	s_and_saveexec_b64 s[2:3], s[0:1]
	s_cbranch_execz .LBB0_16
; %bb.15:
	v_pk_mul_f16 v89, v77, s46 op_sel_hi:[0,1]
	v_pk_mul_f16 v95, v77, s43 op_sel_hi:[0,1]
	v_mul_f16_e32 v77, 0x3770, v77
	v_mul_f16_e32 v51, 0x3b15, v5
	v_pk_mul_f16 v84, v72, s39 op_sel_hi:[0,1]
	v_pk_mul_f16 v90, v72, s33 op_sel_hi:[0,1]
	v_mul_f16_e32 v96, 0x388b, v5
	v_mul_f16_e32 v72, 0xba95, v72
	v_fma_f16 v103, v65, s47, -v77
	s_mov_b32 s47, 0x5040100
	v_mul_f16_e32 v78, 0x388b, v7
	v_pk_mul_f16 v85, v73, s41 op_sel_hi:[0,1]
	v_pk_mul_f16 v91, v73, s35 op_sel_hi:[0,1]
	v_fma_f16 v97, v5, s49, -v72
	v_mul_f16_e32 v98, 0xb5ac, v7
	v_mul_f16_e32 v73, 0xbb7b, v73
	v_perm_b32 v66, v72, v66, s47
	v_perm_b32 v51, v96, v51, s47
	v_add_f16_e32 v97, v48, v97
	v_fma_f16 v99, v7, s51, -v73
	v_pk_add_f16 v51, v66, v51
	v_perm_b32 v66, v73, v67, s47
	v_perm_b32 v67, v98, v78, s47
	v_mul_f16_e32 v79, 0x2fb7, v8
	v_pk_mul_f16 v86, v74, s42 op_sel_hi:[0,1]
	v_pk_mul_f16 v92, v74, s37 op_sel_hi:[0,1]
	v_add_f16_e32 v97, v97, v99
	v_mul_f16_e32 v99, 0xbbc4, v8
	v_mul_f16_e32 v74, 0xb3a8, v74
	v_pk_add_f16 v51, v48, v51 op_sel_hi:[0,1]
	v_pk_add_f16 v66, v66, v67
	v_fma_f16 v100, v8, s52, -v74
	v_pk_add_f16 v51, v51, v66
	v_perm_b32 v66, v74, v68, s47
	v_perm_b32 v67, v99, v79, s47
	v_mul_f16_e32 v80, 0xb5ac, v63
	v_pk_mul_f16 v87, v75, s44 op_sel_hi:[0,1]
	v_pk_mul_f16 v93, v75, s38 op_sel_hi:[0,1]
	v_add_f16_e32 v97, v97, v100
	v_mul_f16_e32 v100, 0xb9fd, v63
	v_mul_f16_e32 v75, 0x394e, v75
	v_pk_add_f16 v66, v66, v67
	v_fma_f16 v101, v63, s50, -v75
	v_pk_add_f16 v51, v51, v66
	v_perm_b32 v66, v75, v69, s47
	v_perm_b32 v67, v100, v80, s47
	v_mul_f16_e32 v81, 0xb9fd, v64
	v_pk_mul_f16 v88, v76, s45 op_sel_hi:[0,1]
	v_pk_mul_f16 v94, v76, s40 op_sel_hi:[0,1]
	v_add_f16_e32 v97, v97, v101
	v_mul_f16_e32 v101, 0x2fb7, v64
	v_mul_f16_e32 v76, 0x3bf1, v76
	v_pk_add_f16 v66, v66, v67
	v_fma_f16 v102, v64, s48, -v76
	v_pk_add_f16 v51, v51, v66
	v_perm_b32 v66, v76, v70, s47
	v_perm_b32 v67, v101, v81, s47
	v_mul_f16_e32 v82, 0xbbc4, v65
	v_add_f16_e32 v97, v97, v102
	v_mul_f16_e32 v102, 0x3b15, v65
	v_pk_add_f16 v66, v66, v67
	v_pk_add_f16 v51, v51, v66
	v_perm_b32 v66, v77, v71, s47
	v_perm_b32 v67, v102, v82, s47
	v_pk_add_f16 v66, v66, v67
	v_pk_add_f16 v66, v51, v66
	v_pk_fma_f16 v51, v5, s22, v90 op_sel_hi:[0,1,1]
	v_pk_add_f16 v51, v48, v51 op_sel_hi:[0,1]
	v_pk_fma_f16 v67, v7, s23, v91 op_sel_hi:[0,1,1]
	v_pk_add_f16 v51, v51, v67
	v_pk_fma_f16 v67, v8, s24, v92 op_sel_hi:[0,1,1]
	v_pk_add_f16 v51, v51, v67
	;; [unrolled: 2-line block ×5, first 2 shown]
	v_pk_fma_f16 v51, v5, s25, v84 op_sel_hi:[0,1,1]
	v_pk_add_f16 v51, v48, v51 op_sel_hi:[0,1]
	v_pk_fma_f16 v68, v7, s27, v85 op_sel_hi:[0,1,1]
	v_add_f16_e32 v83, v48, v13
	v_pk_add_f16 v51, v51, v68
	v_pk_fma_f16 v68, v8, s29, v86 op_sel_hi:[0,1,1]
	v_add_f16_e32 v83, v83, v14
	v_pk_add_f16 v51, v51, v68
	;; [unrolled: 3-line block ×5, first 2 shown]
	v_pk_fma_f16 v51, v5, s25, v84 op_sel_hi:[0,1,1] neg_lo:[0,0,1] neg_hi:[0,0,1]
	v_pk_fma_f16 v5, v5, s22, v90 op_sel_hi:[0,1,1] neg_lo:[0,0,1] neg_hi:[0,0,1]
	v_add_f16_e32 v83, v83, v32
	v_pk_add_f16 v51, v48, v51 op_sel_hi:[0,1]
	v_pk_fma_f16 v69, v7, s27, v85 op_sel_hi:[0,1,1] neg_lo:[0,0,1] neg_hi:[0,0,1]
	v_pk_add_f16 v5, v48, v5 op_sel_hi:[0,1]
	v_pk_fma_f16 v7, v7, s23, v91 op_sel_hi:[0,1,1] neg_lo:[0,0,1] neg_hi:[0,0,1]
	v_add_f16_e32 v83, v83, v36
	v_pk_add_f16 v51, v51, v69
	v_pk_fma_f16 v69, v8, s29, v86 op_sel_hi:[0,1,1] neg_lo:[0,0,1] neg_hi:[0,0,1]
	v_pk_add_f16 v5, v5, v7
	v_pk_fma_f16 v7, v8, s24, v92 op_sel_hi:[0,1,1] neg_lo:[0,0,1] neg_hi:[0,0,1]
	v_add_f16_e32 v83, v37, v83
	v_pk_add_f16 v51, v51, v69
	v_pk_fma_f16 v69, v63, s30, v87 op_sel_hi:[0,1,1] neg_lo:[0,0,1] neg_hi:[0,0,1]
	v_pk_add_f16 v5, v5, v7
	;; [unrolled: 5-line block ×4, first 2 shown]
	v_pk_fma_f16 v7, v65, s31, v95 op_sel_hi:[0,1,1] neg_lo:[0,0,1] neg_hi:[0,0,1]
	v_add_f16_e32 v83, v40, v83
	v_add_f16_e32 v97, v97, v103
	v_pk_add_f16 v51, v51, v69
	v_pk_add_f16 v5, v5, v7
	v_add_f16_e32 v83, v41, v83
	v_alignbit_b32 v69, v51, v51, 16
	v_alignbit_b32 v7, v5, v5, 16
	v_perm_b32 v8, v12, v97, s47
	ds_write_b16 v62, v83 offset:1014
	ds_write_b128 v62, v[66:69] offset:1016
	ds_write_b64 v62, v[7:8] offset:1032
.LBB0_16:
	s_or_b64 exec, exec, s[2:3]
	v_add_f16_e32 v5, v6, v49
	v_add_f16_e32 v5, v5, v50
	;; [unrolled: 1-line block ×11, first 2 shown]
	v_sub_f16_e32 v7, v28, v47
	v_add_f16_e32 v72, v61, v5
	v_add_f16_e32 v5, v61, v49
	v_sub_f16_e32 v28, v30, v46
	v_sub_f16_e32 v35, v35, v42
	v_pk_mul_f16 v42, v7, s16 op_sel_hi:[0,1]
	v_add_f16_e32 v8, v60, v50
	v_pk_fma_f16 v46, v5, s6, v42 op_sel_hi:[0,1,1] neg_lo:[0,0,1] neg_hi:[0,0,1]
	v_pk_mul_f16 v47, v28, s17 op_sel_hi:[0,1]
	v_sub_f16_e32 v31, v31, v45
	v_pk_add_f16 v46, v46, v6 op_sel_hi:[1,0]
	v_pk_fma_f16 v48, v8, s7, v47 op_sel_hi:[0,1,1] neg_lo:[0,0,1] neg_hi:[0,0,1]
	v_add_f16_e32 v30, v59, v52
	v_pk_add_f16 v46, v46, v48
	v_pk_mul_f16 v48, v31, s18 op_sel_hi:[0,1]
	v_sub_f16_e32 v33, v33, v44
	v_pk_fma_f16 v49, v30, s8, v48 op_sel_hi:[0,1,1] neg_lo:[0,0,1] neg_hi:[0,0,1]
	v_add_f16_e32 v45, v58, v53
	v_pk_add_f16 v46, v46, v49
	v_pk_mul_f16 v49, v33, s19 op_sel_hi:[0,1]
	v_sub_f16_e32 v34, v34, v43
	v_pk_fma_f16 v50, v45, s9, v49 op_sel_hi:[0,1,1] neg_lo:[0,0,1] neg_hi:[0,0,1]
	v_add_f16_e32 v44, v57, v54
	v_pk_add_f16 v46, v46, v50
	v_pk_mul_f16 v50, v34, s20 op_sel_hi:[0,1]
	v_pk_fma_f16 v51, v44, s14, v50 op_sel_hi:[0,1,1] neg_lo:[0,0,1] neg_hi:[0,0,1]
	v_add_f16_e32 v43, v56, v55
	v_pk_add_f16 v46, v46, v51
	v_pk_mul_f16 v51, v35, s21 op_sel_hi:[0,1]
	v_pk_fma_f16 v52, v43, s15, v51 op_sel_hi:[0,1,1] neg_lo:[0,0,1] neg_hi:[0,0,1]
	v_pk_fma_f16 v42, v5, s6, v42 op_sel_hi:[0,1,1]
	v_pk_add_f16 v69, v46, v52
	v_pk_add_f16 v42, v42, v6 op_sel_hi:[1,0]
	v_pk_fma_f16 v46, v8, s7, v47 op_sel_hi:[0,1,1]
	v_pk_add_f16 v42, v42, v46
	v_pk_fma_f16 v46, v30, s8, v48 op_sel_hi:[0,1,1]
	v_pk_add_f16 v42, v42, v46
	;; [unrolled: 2-line block ×5, first 2 shown]
	v_pk_mul_f16 v42, v7, s33 op_sel_hi:[0,1]
	v_pk_fma_f16 v46, v5, s22, v42 op_sel_hi:[0,1,1] neg_lo:[0,0,1] neg_hi:[0,0,1]
	v_pk_mul_f16 v47, v28, s35 op_sel_hi:[0,1]
	v_pk_add_f16 v46, v46, v6 op_sel_hi:[1,0]
	v_pk_fma_f16 v48, v8, s23, v47 op_sel_hi:[0,1,1] neg_lo:[0,0,1] neg_hi:[0,0,1]
	v_pk_add_f16 v46, v46, v48
	v_pk_mul_f16 v48, v31, s37 op_sel_hi:[0,1]
	v_pk_fma_f16 v49, v30, s24, v48 op_sel_hi:[0,1,1] neg_lo:[0,0,1] neg_hi:[0,0,1]
	v_pk_add_f16 v46, v46, v49
	v_pk_mul_f16 v49, v33, s38 op_sel_hi:[0,1]
	;; [unrolled: 3-line block ×4, first 2 shown]
	v_pk_fma_f16 v52, v43, s31, v51 op_sel_hi:[0,1,1] neg_lo:[0,0,1] neg_hi:[0,0,1]
	v_pk_fma_f16 v42, v5, s22, v42 op_sel_hi:[0,1,1]
	v_pk_add_f16 v70, v46, v52
	v_pk_add_f16 v42, v42, v6 op_sel_hi:[1,0]
	v_pk_fma_f16 v46, v8, s23, v47 op_sel_hi:[0,1,1]
	v_pk_add_f16 v42, v42, v46
	v_pk_fma_f16 v46, v30, s24, v48 op_sel_hi:[0,1,1]
	v_pk_add_f16 v42, v42, v46
	;; [unrolled: 2-line block ×4, first 2 shown]
	v_pk_fma_f16 v46, v43, s31, v51 op_sel_hi:[0,1,1]
	v_pk_mul_f16 v7, v7, s39 op_sel_hi:[0,1]
	v_pk_add_f16 v74, v42, v46
	v_pk_fma_f16 v42, v5, s25, v7 op_sel_hi:[0,1,1] neg_lo:[0,0,1] neg_hi:[0,0,1]
	v_pk_mul_f16 v28, v28, s41 op_sel_hi:[0,1]
	v_pk_fma_f16 v5, v5, s25, v7 op_sel_hi:[0,1,1]
	v_pk_add_f16 v42, v42, v6 op_sel_hi:[1,0]
	v_pk_mul_f16 v31, v31, s42 op_sel_hi:[0,1]
	v_pk_add_f16 v5, v5, v6 op_sel_hi:[1,0]
	v_pk_fma_f16 v6, v8, s27, v28 op_sel_hi:[0,1,1]
	v_pk_mul_f16 v33, v33, s44 op_sel_hi:[0,1]
	v_pk_add_f16 v5, v5, v6
	v_pk_fma_f16 v6, v30, s29, v31 op_sel_hi:[0,1,1]
	v_pk_mul_f16 v34, v34, s45 op_sel_hi:[0,1]
	v_pk_add_f16 v5, v5, v6
	v_pk_fma_f16 v6, v45, s30, v33 op_sel_hi:[0,1,1]
	v_pk_fma_f16 v46, v8, s27, v28 op_sel_hi:[0,1,1] neg_lo:[0,0,1] neg_hi:[0,0,1]
	v_pk_mul_f16 v35, v35, s46 op_sel_hi:[0,1]
	v_pk_add_f16 v5, v5, v6
	v_pk_fma_f16 v6, v44, s34, v34 op_sel_hi:[0,1,1]
	v_sub_f16_e32 v68, v13, v41
	v_pk_add_f16 v42, v42, v46
	v_pk_fma_f16 v46, v30, s29, v31 op_sel_hi:[0,1,1] neg_lo:[0,0,1] neg_hi:[0,0,1]
	v_pk_add_f16 v5, v5, v6
	v_pk_fma_f16 v6, v43, s36, v35 op_sel_hi:[0,1,1]
	v_add_f16_e32 v67, v11, v25
	v_sub_f16_e32 v66, v14, v40
	v_pk_mul_f16 v55, v68, s16 op_sel_hi:[0,1]
	v_pk_add_f16 v42, v42, v46
	v_pk_fma_f16 v46, v45, s30, v33 op_sel_hi:[0,1,1] neg_lo:[0,0,1] neg_hi:[0,0,1]
	v_pk_add_f16 v75, v5, v6
	v_add_f16_e32 v65, v15, v20
	v_sub_f16_e32 v64, v26, v39
	v_pk_mul_f16 v54, v66, s17 op_sel_hi:[0,1]
	v_pk_fma_f16 v5, v67, s6, v55 op_sel_hi:[0,1,1]
	v_pk_add_f16 v42, v42, v46
	v_pk_fma_f16 v46, v44, s34, v34 op_sel_hi:[0,1,1] neg_lo:[0,0,1] neg_hi:[0,0,1]
	v_add_f16_e32 v63, v16, v21
	v_sub_f16_e32 v61, v27, v38
	v_pk_mul_f16 v47, v64, s18 op_sel_hi:[0,1]
	v_pk_add_f16 v5, v10, v5 op_sel_hi:[0,1]
	v_pk_fma_f16 v6, v65, s7, v54 op_sel_hi:[0,1,1]
	v_pk_add_f16 v42, v42, v46
	v_pk_fma_f16 v46, v43, s36, v35 op_sel_hi:[0,1,1] neg_lo:[0,0,1] neg_hi:[0,0,1]
	v_add_f16_e32 v60, v17, v22
	v_sub_f16_e32 v59, v29, v37
	v_pk_mul_f16 v43, v61, s19 op_sel_hi:[0,1]
	v_pk_add_f16 v5, v5, v6
	v_pk_fma_f16 v6, v63, s8, v47 op_sel_hi:[0,1,1]
	v_add_f16_e32 v58, v18, v23
	v_sub_f16_e32 v57, v32, v36
	v_pk_mul_f16 v35, v59, s20 op_sel_hi:[0,1]
	v_pk_add_f16 v5, v5, v6
	v_pk_fma_f16 v6, v60, s9, v43 op_sel_hi:[0,1,1]
	v_add_f16_e32 v56, v19, v24
	v_pk_mul_f16 v29, v57, s21 op_sel_hi:[0,1]
	v_pk_add_f16 v5, v5, v6
	v_pk_fma_f16 v6, v58, s14, v35 op_sel_hi:[0,1,1]
	v_pk_add_f16 v5, v5, v6
	v_pk_fma_f16 v6, v56, s15, v29 op_sel_hi:[0,1,1]
	v_pk_add_f16 v14, v5, v6
	v_lshlrev_b32_e32 v5, 1, v9
	v_lshlrev_b32_e32 v13, 1, v0
	v_add_u32_e32 v6, 0, v5
	v_add_u32_e32 v7, v6, v13
	v_pk_add_f16 v71, v42, v46
	s_waitcnt lgkmcnt(0)
	s_barrier
	v_add3_u32 v0, 0, v13, v5
	ds_read_u16 v45, v7 offset:468
	ds_read_u16 v40, v7 offset:546
	ds_read_u16 v30, v0
	ds_read_u16 v28, v7 offset:78
	ds_read_u16 v27, v7 offset:156
	ds_read_u16 v26, v7 offset:234
	ds_read_u16 v38, v7 offset:624
	ds_read_u16 v48, v7 offset:858
	ds_read_u16 v44, v7 offset:936
	ds_read_u16 v37, v7 offset:1014
	ds_read_u16 v49, v7 offset:1248
	ds_read_u16 v42, v7 offset:1326
	ds_read_u16 v36, v7 offset:1404
	ds_read_u16 v46, v7 offset:1638
	ds_read_u16 v41, v7 offset:1716
	ds_read_u16 v34, v7 offset:1794
	ds_read_u16 v51, v7 offset:390
	ds_read_u16 v6, v7 offset:312
	ds_read_u16 v50, v7 offset:1170
	ds_read_u16 v32, v7 offset:1092
	ds_read_u16 v53, v7 offset:780
	ds_read_u16 v39, v7 offset:702
	ds_read_u16 v52, v7 offset:1560
	ds_read_u16 v33, v7 offset:1482
	ds_read_u16 v31, v7 offset:1872
	s_waitcnt lgkmcnt(0)
	s_barrier
	ds_write_b16 v62, v72
	v_alignbit_b32 v72, v75, v75, 16
	v_add_u32_e32 v8, 39, v9
	ds_write_b128 v62, v[69:72] offset:2
	v_alignbit_b32 v69, v74, v74, 16
	v_alignbit_b32 v70, v73, v73, 16
	ds_write_b64 v62, v[69:70] offset:18
	s_and_saveexec_b64 s[2:3], s[0:1]
	s_cbranch_execz .LBB0_18
; %bb.17:
	v_pack_b32_f16 v62, v67, v67
	v_pk_mul_f16 v67, v67, s6 op_sel_hi:[0,1]
	s_mov_b32 s0, 0x5040100
	v_perm_b32 v69, v10, v10, s0
	v_pack_b32_f16 v70, v65, v65
	v_pk_mul_f16 v65, v65, s7 op_sel_hi:[0,1]
	v_add_f16_e32 v10, v10, v11
	v_pk_add_f16 v11, v67, v55 neg_lo:[0,1] neg_hi:[0,1]
	v_pack_b32_f16 v71, v63, v63
	v_pk_mul_f16 v63, v63, s8 op_sel_hi:[0,1]
	v_add_f16_e32 v10, v10, v15
	v_pk_add_f16 v11, v69, v11
	v_pk_add_f16 v15, v65, v54 neg_lo:[0,1] neg_hi:[0,1]
	v_pack_b32_f16 v72, v60, v60
	v_pk_mul_f16 v60, v60, s9 op_sel_hi:[0,1]
	v_pk_add_f16 v11, v11, v15
	v_pk_add_f16 v15, v63, v47 neg_lo:[0,1] neg_hi:[0,1]
	v_pack_b32_f16 v73, v58, v58
	v_pk_mul_f16 v58, v58, s14 op_sel_hi:[0,1]
	;; [unrolled: 4-line block ×3, first 2 shown]
	v_add_f16_e32 v10, v10, v16
	v_pk_add_f16 v11, v11, v15
	v_pk_add_f16 v15, v58, v35 neg_lo:[0,1] neg_hi:[0,1]
	v_pack_b32_f16 v68, v68, v68
	v_add_f16_e32 v10, v10, v17
	v_pk_add_f16 v11, v11, v15
	v_pk_add_f16 v15, v56, v29 neg_lo:[0,1] neg_hi:[0,1]
	s_mov_b32 s1, 0xbb7bbbf1
	v_pack_b32_f16 v66, v66, v66
	v_add_f16_e32 v10, v10, v18
	v_pk_add_f16 v15, v11, v15
	s_mov_b32 s0, 0xb5ac2fb7
	v_pk_mul_f16 v11, v68, s1
	s_mov_b32 s6, 0x394eb3a8
	v_add_f16_e32 v10, v10, v19
	v_pk_fma_f16 v16, v62, s0, v11 neg_lo:[0,0,1] neg_hi:[0,0,1]
	s_mov_b32 s1, 0xb9fdbbc4
	v_pk_mul_f16 v17, v66, s6
	v_pack_b32_f16 v64, v64, v64
	v_add_f16_e32 v10, v10, v24
	v_pk_add_f16 v16, v69, v16
	v_pk_fma_f16 v18, v70, s1, v17 neg_lo:[0,0,1] neg_hi:[0,0,1]
	s_mov_b32 s7, 0x37703b7b
	v_add_f16_e32 v10, v23, v10
	v_pk_add_f16 v16, v16, v18
	s_mov_b32 s6, 0x3b15b5ac
	v_pk_mul_f16 v18, v64, s7
	v_pack_b32_f16 v61, v61, v61
	v_add_f16_e32 v10, v22, v10
	v_pk_fma_f16 v19, v71, s6, v18 neg_lo:[0,0,1] neg_hi:[0,0,1]
	s_mov_b32 s8, 0xbbf13770
	v_add_f16_e32 v10, v21, v10
	v_pk_add_f16 v16, v16, v19
	s_mov_b32 s7, 0x2fb73b15
	v_pk_mul_f16 v19, v61, s8
	v_pk_fma_f16 v11, v62, s0, v11
	v_pack_b32_f16 v59, v59, v59
	v_add_f16_e32 v10, v20, v10
	v_pk_fma_f16 v20, v72, s7, v19 neg_lo:[0,0,1] neg_hi:[0,0,1]
	s_mov_b32 s9, 0x33a8ba95
	v_pk_add_f16 v11, v69, v11
	v_pk_fma_f16 v17, v70, s1, v17
	v_pk_add_f16 v16, v16, v20
	s_mov_b32 s8, 0xbbc4388b
	v_pk_mul_f16 v20, v59, s9
	v_pk_add_f16 v11, v11, v17
	v_pk_fma_f16 v17, v71, s6, v18
	v_pack_b32_f16 v57, v57, v57
	v_pk_fma_f16 v21, v73, s8, v20 neg_lo:[0,0,1] neg_hi:[0,0,1]
	s_mov_b32 s14, 0x3a95b94e
	v_pk_add_f16 v11, v11, v17
	v_pk_fma_f16 v17, v72, s7, v19
	v_pk_add_f16 v16, v16, v21
	s_mov_b32 s9, 0x388bb9fd
	v_pk_mul_f16 v21, v57, s14
	v_pk_add_f16 v11, v11, v17
	v_pk_fma_f16 v17, v73, s8, v20
	s_mov_b32 s1, 0xb3a8b94e
	v_pk_add_f16 v11, v11, v17
	v_pk_fma_f16 v17, v74, s9, v21
	s_mov_b32 s0, 0xbbc4b9fd
	v_pk_mul_f16 v18, v68, s1
	s_mov_b32 s6, 0x37703bf1
	v_pk_add_f16 v11, v11, v17
	v_pk_fma_f16 v17, v62, s0, v18 neg_lo:[0,0,1] neg_hi:[0,0,1]
	s_mov_b32 s1, 0x3b152fb7
	v_pk_mul_f16 v19, v66, s6
	v_pk_add_f16 v17, v69, v17
	v_pk_fma_f16 v20, v70, s1, v19 neg_lo:[0,0,1] neg_hi:[0,0,1]
	s_mov_b32 s7, 0xb94eba95
	v_pk_add_f16 v17, v17, v20
	s_mov_b32 s6, 0xb9fd388b
	v_pk_mul_f16 v20, v64, s7
	v_pk_fma_f16 v22, v74, s9, v21 neg_lo:[0,0,1] neg_hi:[0,0,1]
	v_pk_fma_f16 v21, v71, s6, v20 neg_lo:[0,0,1] neg_hi:[0,0,1]
	s_mov_b32 s8, 0x3a9533a8
	v_pk_add_f16 v17, v17, v21
	s_mov_b32 s7, 0x388bbbc4
	v_pk_mul_f16 v21, v61, s8
	v_pk_fma_f16 v18, v62, s0, v18
	v_pk_add_f16 v16, v16, v22
	v_pk_fma_f16 v22, v72, s7, v21 neg_lo:[0,0,1] neg_hi:[0,0,1]
	s_mov_b32 s9, 0xbb7b3770
	v_pk_add_f16 v18, v69, v18
	v_pk_fma_f16 v19, v70, s1, v19
	v_pk_add_f16 v17, v17, v22
	s_mov_b32 s8, 0xb5ac3b15
	v_pk_mul_f16 v22, v59, s9
	v_pk_add_f16 v18, v18, v19
	v_pk_fma_f16 v19, v71, s6, v20
	v_pk_fma_f16 v23, v73, s8, v22 neg_lo:[0,0,1] neg_hi:[0,0,1]
	s_mov_b32 s14, 0x3bf1bb7b
	v_pk_add_f16 v18, v18, v19
	v_pk_fma_f16 v19, v72, s7, v21
	v_pk_add_f16 v17, v17, v23
	s_mov_b32 s9, 0x2fb7b5ac
	v_pk_mul_f16 v23, v57, s14
	v_pk_add_f16 v18, v18, v19
	v_pk_fma_f16 v19, v73, s8, v22
	v_pk_add_f16 v18, v18, v19
	v_pk_fma_f16 v19, v74, s9, v23
	v_pk_add_f16 v18, v18, v19
	v_mul_u32_u24_e32 v19, 26, v8
	v_add_f16_e32 v10, v25, v10
	v_pk_fma_f16 v24, v74, s9, v23 neg_lo:[0,0,1] neg_hi:[0,0,1]
	v_add3_u32 v19, 0, v19, v13
	v_pk_add_f16 v17, v17, v24
	ds_write_b16 v19, v10
	v_alignbit_b32 v18, v18, v18, 16
	v_alignbit_b32 v10, v11, v11, 16
	;; [unrolled: 1-line block ×3, first 2 shown]
	ds_write_b128 v19, v[15:18] offset:2
	ds_write_b64 v19, v[10:11] offset:18
.LBB0_18:
	s_or_b64 exec, exec, s[2:3]
	s_movk_i32 s0, 0x4f
	v_mul_lo_u16_sdwa v10, v9, s0 dst_sel:DWORD dst_unused:UNUSED_PAD src0_sel:BYTE_0 src1_sel:DWORD
	v_lshrrev_b16_e32 v24, 10, v10
	v_mul_lo_u16_e32 v10, 13, v24
	v_sub_u16_e32 v96, v9, v10
	v_mov_b32_e32 v29, 4
	v_lshlrev_b32_sdwa v10, v29, v96 dst_sel:DWORD dst_unused:UNUSED_PAD src0_sel:DWORD src1_sel:BYTE_0
	s_waitcnt lgkmcnt(0)
	s_barrier
	global_load_dwordx4 v[16:19], v10, s[12:13]
	v_mul_lo_u16_sdwa v10, v8, s0 dst_sel:DWORD dst_unused:UNUSED_PAD src0_sel:BYTE_0 src1_sel:DWORD
	v_lshrrev_b16_e32 v97, 10, v10
	v_mul_lo_u16_e32 v10, 13, v97
	v_sub_u16_e32 v98, v8, v10
	v_lshlrev_b32_sdwa v10, v29, v98 dst_sel:DWORD dst_unused:UNUSED_PAD src0_sel:DWORD src1_sel:BYTE_0
	global_load_dwordx4 v[20:23], v10, s[12:13]
	v_add_u32_e32 v10, 0x4e, v9
	v_mul_lo_u16_sdwa v11, v10, s0 dst_sel:DWORD dst_unused:UNUSED_PAD src0_sel:BYTE_0 src1_sel:DWORD
	v_lshrrev_b16_e32 v99, 10, v11
	v_mul_lo_u16_e32 v11, 13, v99
	v_sub_u16_e32 v100, v10, v11
	v_lshlrev_b32_sdwa v11, v29, v100 dst_sel:DWORD dst_unused:UNUSED_PAD src0_sel:DWORD src1_sel:BYTE_0
	global_load_dwordx4 v[54:57], v11, s[12:13]
	v_add_u32_e32 v11, 0x75, v9
	v_mul_lo_u16_sdwa v25, v11, s0 dst_sel:DWORD dst_unused:UNUSED_PAD src0_sel:BYTE_0 src1_sel:DWORD
	v_lshrrev_b16_e32 v101, 10, v25
	v_mul_lo_u16_e32 v25, 13, v101
	v_sub_u16_e32 v102, v11, v25
	v_lshlrev_b32_sdwa v25, v29, v102 dst_sel:DWORD dst_unused:UNUSED_PAD src0_sel:DWORD src1_sel:BYTE_0
	global_load_dwordx4 v[88:91], v25, s[12:13]
	v_add_u32_e32 v15, 0x9c, v9
	v_mul_lo_u16_sdwa v63, v15, s0 dst_sel:DWORD dst_unused:UNUSED_PAD src0_sel:BYTE_0 src1_sel:DWORD
	v_lshrrev_b16_e32 v103, 10, v63
	v_mul_lo_u16_e32 v63, 13, v103
	v_sub_u16_e32 v104, v15, v63
	v_lshlrev_b32_sdwa v29, v29, v104 dst_sel:DWORD dst_unused:UNUSED_PAD src0_sel:DWORD src1_sel:BYTE_0
	ds_read_u16 v58, v7 offset:468
	ds_read_u16 v59, v7 offset:546
	ds_read_u16 v47, v0
	ds_read_u16 v43, v7 offset:78
	ds_read_u16 v35, v7 offset:156
	;; [unrolled: 1-line block ×7, first 2 shown]
	global_load_dwordx4 v[92:95], v29, s[12:13]
	ds_read_u16 v63, v7 offset:1248
	ds_read_u16 v64, v7 offset:1326
	;; [unrolled: 1-line block ×15, first 2 shown]
	s_mov_b32 s7, 0xbb9c
	s_movk_i32 s9, 0x3b9c
	s_mov_b32 s6, 0xb8b4
	s_movk_i32 s14, 0x38b4
	s_movk_i32 s8, 0x34f2
	;; [unrolled: 1-line block ×3, first 2 shown]
	s_waitcnt vmcnt(0) lgkmcnt(0)
	s_barrier
	v_mul_f16_sdwa v72, v67, v16 dst_sel:DWORD dst_unused:UNUSED_PAD src0_sel:DWORD src1_sel:WORD_1
	v_mul_f16_sdwa v73, v51, v16 dst_sel:DWORD dst_unused:UNUSED_PAD src0_sel:DWORD src1_sel:WORD_1
	v_fma_f16 v84, v51, v16, v72
	v_fma_f16 v79, v67, v16, -v73
	v_mul_f16_sdwa v81, v52, v19 dst_sel:DWORD dst_unused:UNUSED_PAD src0_sel:DWORD src1_sel:WORD_1
	v_mul_f16_sdwa v74, v70, v17 dst_sel:DWORD dst_unused:UNUSED_PAD src0_sel:DWORD src1_sel:WORD_1
	;; [unrolled: 1-line block ×3, first 2 shown]
	v_fma_f16 v72, v63, v22, -v16
	v_mul_f16_sdwa v16, v66, v23 dst_sel:DWORD dst_unused:UNUSED_PAD src0_sel:DWORD src1_sel:WORD_1
	v_fma_f16 v83, v71, v19, -v81
	v_fma_f16 v81, v46, v23, v16
	v_mul_f16_sdwa v16, v46, v23 dst_sel:DWORD dst_unused:UNUSED_PAD src0_sel:DWORD src1_sel:WORD_1
	v_fma_f16 v85, v53, v17, v74
	v_fma_f16 v74, v66, v23, -v16
	v_mul_f16_sdwa v16, v59, v54 dst_sel:DWORD dst_unused:UNUSED_PAD src0_sel:DWORD src1_sel:WORD_1
	v_fma_f16 v67, v40, v54, v16
	v_mul_f16_sdwa v16, v40, v54 dst_sel:DWORD dst_unused:UNUSED_PAD src0_sel:DWORD src1_sel:WORD_1
	v_mul_f16_sdwa v75, v53, v17 dst_sel:DWORD dst_unused:UNUSED_PAD src0_sel:DWORD src1_sel:WORD_1
	v_fma_f16 v59, v59, v54, -v16
	v_mul_f16_sdwa v16, v62, v55 dst_sel:DWORD dst_unused:UNUSED_PAD src0_sel:DWORD src1_sel:WORD_1
	v_fma_f16 v80, v70, v17, -v75
	v_fma_f16 v70, v44, v55, v16
	v_mul_f16_sdwa v16, v44, v55 dst_sel:DWORD dst_unused:UNUSED_PAD src0_sel:DWORD src1_sel:WORD_1
	v_mul_f16_sdwa v115, v63, v22 dst_sel:DWORD dst_unused:UNUSED_PAD src0_sel:DWORD src1_sel:WORD_1
	v_fma_f16 v63, v62, v55, -v16
	v_mul_f16_sdwa v16, v64, v56 dst_sel:DWORD dst_unused:UNUSED_PAD src0_sel:DWORD src1_sel:WORD_1
	v_fma_f16 v73, v42, v56, v16
	v_mul_f16_sdwa v16, v42, v56 dst_sel:DWORD dst_unused:UNUSED_PAD src0_sel:DWORD src1_sel:WORD_1
	v_fma_f16 v64, v64, v56, -v16
	v_mul_f16_sdwa v16, v105, v57 dst_sel:DWORD dst_unused:UNUSED_PAD src0_sel:DWORD src1_sel:WORD_1
	v_fma_f16 v75, v41, v57, v16
	v_mul_f16_sdwa v16, v41, v57 dst_sel:DWORD dst_unused:UNUSED_PAD src0_sel:DWORD src1_sel:WORD_1
	v_mul_f16_sdwa v114, v48, v21 dst_sel:DWORD dst_unused:UNUSED_PAD src0_sel:DWORD src1_sel:WORD_1
	v_fma_f16 v66, v105, v57, -v16
	v_mul_f16_sdwa v16, v61, v88 dst_sel:DWORD dst_unused:UNUSED_PAD src0_sel:DWORD src1_sel:WORD_1
	v_mul_f16_sdwa v78, v71, v19 dst_sel:DWORD dst_unused:UNUSED_PAD src0_sel:DWORD src1_sel:WORD_1
	;; [unrolled: 1-line block ×3, first 2 shown]
	v_fma_f16 v71, v60, v21, -v114
	v_fma_f16 v60, v38, v88, v16
	v_mul_f16_sdwa v16, v38, v88 dst_sel:DWORD dst_unused:UNUSED_PAD src0_sel:DWORD src1_sel:WORD_1
	v_fma_f16 v87, v52, v19, v78
	v_fma_f16 v52, v61, v88, -v16
	v_mul_f16_sdwa v16, v65, v89 dst_sel:DWORD dst_unused:UNUSED_PAD src0_sel:DWORD src1_sel:WORD_1
	v_fma_f16 v62, v37, v89, v16
	v_mul_f16_sdwa v16, v37, v89 dst_sel:DWORD dst_unused:UNUSED_PAD src0_sel:DWORD src1_sel:WORD_1
	v_fma_f16 v55, v65, v89, -v16
	v_mul_f16_sdwa v16, v68, v90 dst_sel:DWORD dst_unused:UNUSED_PAD src0_sel:DWORD src1_sel:WORD_1
	v_fma_f16 v65, v36, v90, v16
	v_mul_f16_sdwa v16, v36, v90 dst_sel:DWORD dst_unused:UNUSED_PAD src0_sel:DWORD src1_sel:WORD_1
	v_fma_f16 v56, v68, v90, -v16
	v_mul_f16_sdwa v16, v106, v91 dst_sel:DWORD dst_unused:UNUSED_PAD src0_sel:DWORD src1_sel:WORD_1
	v_mul_f16_sdwa v77, v50, v18 dst_sel:DWORD dst_unused:UNUSED_PAD src0_sel:DWORD src1_sel:WORD_1
	;; [unrolled: 1-line block ×3, first 2 shown]
	v_fma_f16 v68, v34, v91, v16
	v_mul_f16_sdwa v16, v34, v91 dst_sel:DWORD dst_unused:UNUSED_PAD src0_sel:DWORD src1_sel:WORD_1
	v_mul_f16_sdwa v76, v69, v18 dst_sel:DWORD dst_unused:UNUSED_PAD src0_sel:DWORD src1_sel:WORD_1
	;; [unrolled: 1-line block ×3, first 2 shown]
	v_fma_f16 v82, v69, v18, -v77
	v_fma_f16 v69, v58, v20, -v112
	;; [unrolled: 1-line block ×3, first 2 shown]
	v_mul_f16_sdwa v16, v108, v92 dst_sel:DWORD dst_unused:UNUSED_PAD src0_sel:DWORD src1_sel:WORD_1
	v_fma_f16 v53, v39, v92, v16
	v_mul_f16_sdwa v16, v39, v92 dst_sel:DWORD dst_unused:UNUSED_PAD src0_sel:DWORD src1_sel:WORD_1
	v_fma_f16 v86, v50, v18, v76
	v_fma_f16 v76, v45, v20, v111
	v_fma_f16 v45, v108, v92, -v16
	v_mul_f16_sdwa v16, v107, v93 dst_sel:DWORD dst_unused:UNUSED_PAD src0_sel:DWORD src1_sel:WORD_1
	v_fma_f16 v54, v32, v93, v16
	v_mul_f16_sdwa v16, v32, v93 dst_sel:DWORD dst_unused:UNUSED_PAD src0_sel:DWORD src1_sel:WORD_1
	v_fma_f16 v78, v49, v22, v115
	v_fma_f16 v49, v107, v93, -v16
	v_mul_f16_sdwa v16, v109, v94 dst_sel:DWORD dst_unused:UNUSED_PAD src0_sel:DWORD src1_sel:WORD_1
	v_fma_f16 v57, v33, v94, v16
	v_mul_f16_sdwa v16, v33, v94 dst_sel:DWORD dst_unused:UNUSED_PAD src0_sel:DWORD src1_sel:WORD_1
	v_fma_f16 v50, v109, v94, -v16
	v_mul_f16_sdwa v16, v110, v95 dst_sel:DWORD dst_unused:UNUSED_PAD src0_sel:DWORD src1_sel:WORD_1
	v_fma_f16 v61, v31, v95, v16
	v_mul_f16_sdwa v16, v31, v95 dst_sel:DWORD dst_unused:UNUSED_PAD src0_sel:DWORD src1_sel:WORD_1
	v_fma_f16 v51, v110, v95, -v16
	v_add_f16_e32 v16, v30, v84
	v_add_f16_e32 v16, v16, v85
	;; [unrolled: 1-line block ×5, first 2 shown]
	v_fma_f16 v16, v16, -0.5, v30
	v_sub_f16_e32 v18, v79, v83
	v_fma_f16 v77, v48, v21, v113
	v_fma_f16 v19, v18, s7, v16
	v_sub_f16_e32 v20, v80, v82
	v_sub_f16_e32 v21, v84, v85
	v_sub_f16_e32 v22, v87, v86
	v_fma_f16 v16, v18, s9, v16
	v_fma_f16 v19, v20, s6, v19
	v_add_f16_e32 v21, v21, v22
	v_fma_f16 v16, v20, s14, v16
	v_fma_f16 v19, v21, s8, v19
	v_fma_f16 v21, v21, s8, v16
	v_add_f16_e32 v16, v84, v87
	v_fma_f16 v16, v16, -0.5, v30
	v_fma_f16 v22, v20, s9, v16
	v_sub_f16_e32 v23, v85, v84
	v_sub_f16_e32 v30, v86, v87
	v_fma_f16 v16, v20, s7, v16
	v_add_f16_e32 v23, v23, v30
	v_fma_f16 v16, v18, s14, v16
	v_fma_f16 v22, v18, s6, v22
	v_fma_f16 v18, v23, s8, v16
	v_add_f16_e32 v16, v28, v76
	v_add_f16_e32 v16, v16, v77
	v_add_f16_e32 v16, v16, v78
	v_add_f16_e32 v20, v16, v81
	v_add_f16_e32 v16, v77, v78
	v_fma_f16 v22, v23, s8, v22
	v_fma_f16 v16, v16, -0.5, v28
	v_sub_f16_e32 v23, v69, v74
	v_fma_f16 v30, v23, s7, v16
	v_sub_f16_e32 v31, v71, v72
	v_sub_f16_e32 v32, v76, v77
	v_sub_f16_e32 v33, v81, v78
	v_fma_f16 v16, v23, s9, v16
	v_fma_f16 v30, v31, s6, v30
	v_add_f16_e32 v32, v32, v33
	v_fma_f16 v16, v31, s14, v16
	v_fma_f16 v30, v32, s8, v30
	v_fma_f16 v32, v32, s8, v16
	v_add_f16_e32 v16, v76, v81
	v_fma_f16 v16, v16, -0.5, v28
	v_fma_f16 v28, v31, s9, v16
	v_sub_f16_e32 v33, v77, v76
	v_sub_f16_e32 v34, v78, v81
	v_fma_f16 v16, v31, s7, v16
	v_add_f16_e32 v33, v33, v34
	v_fma_f16 v16, v23, s14, v16
	v_fma_f16 v28, v23, s6, v28
	v_fma_f16 v23, v33, s8, v16
	v_add_f16_e32 v16, v27, v67
	v_add_f16_e32 v16, v16, v70
	v_add_f16_e32 v16, v16, v73
	v_add_f16_e32 v31, v16, v75
	v_add_f16_e32 v16, v70, v73
	v_fma_f16 v28, v33, s8, v28
	v_fma_f16 v16, v16, -0.5, v27
	v_sub_f16_e32 v33, v59, v66
	;; [unrolled: 28-line block ×4, first 2 shown]
	v_fma_f16 v44, v42, s7, v16
	v_sub_f16_e32 v46, v49, v50
	v_sub_f16_e32 v48, v53, v54
	;; [unrolled: 1-line block ×3, first 2 shown]
	v_fma_f16 v16, v42, s9, v16
	v_fma_f16 v44, v46, s6, v44
	v_add_f16_e32 v48, v48, v88
	v_fma_f16 v16, v46, s14, v16
	v_fma_f16 v44, v48, s8, v44
	;; [unrolled: 1-line block ×3, first 2 shown]
	v_add_f16_e32 v48, v53, v61
	v_fma_f16 v6, v48, -0.5, v6
	v_fma_f16 v48, v46, s9, v6
	v_sub_f16_e32 v88, v54, v53
	v_sub_f16_e32 v89, v57, v61
	v_fma_f16 v6, v46, s7, v6
	v_add_f16_e32 v88, v88, v89
	v_fma_f16 v6, v42, s14, v6
	v_fma_f16 v48, v42, s6, v48
	v_fma_f16 v42, v88, s8, v6
	v_mad_u32_u24 v6, v24, s0, 0
	v_mov_b32_e32 v24, 1
	v_lshlrev_b32_sdwa v46, v24, v96 dst_sel:DWORD dst_unused:UNUSED_PAD src0_sel:DWORD src1_sel:BYTE_0
	v_add3_u32 v6, v6, v46, v13
	ds_write_b16 v6, v17
	ds_write_b16 v6, v19 offset:26
	ds_write_b16 v6, v22 offset:52
	;; [unrolled: 1-line block ×4, first 2 shown]
	v_mad_u32_u24 v17, v97, s0, 0
	v_lshlrev_b32_sdwa v18, v24, v98 dst_sel:DWORD dst_unused:UNUSED_PAD src0_sel:DWORD src1_sel:BYTE_0
	v_fma_f16 v48, v88, s8, v48
	v_add3_u32 v88, v17, v18, v13
	v_mad_u32_u24 v17, v99, s0, 0
	v_lshlrev_b32_sdwa v18, v24, v100 dst_sel:DWORD dst_unused:UNUSED_PAD src0_sel:DWORD src1_sel:BYTE_0
	v_add3_u32 v89, v17, v18, v13
	v_mad_u32_u24 v17, v101, s0, 0
	v_lshlrev_b32_sdwa v18, v24, v102 dst_sel:DWORD dst_unused:UNUSED_PAD src0_sel:DWORD src1_sel:BYTE_0
	;; [unrolled: 3-line block ×3, first 2 shown]
	v_add3_u32 v91, v17, v18, v13
	ds_write_b16 v88, v20
	ds_write_b16 v88, v30 offset:26
	ds_write_b16 v88, v28 offset:52
	ds_write_b16 v88, v23 offset:78
	ds_write_b16 v88, v32 offset:104
	ds_write_b16 v89, v31
	ds_write_b16 v89, v34 offset:26
	ds_write_b16 v89, v27 offset:52
	ds_write_b16 v89, v33 offset:78
	ds_write_b16 v89, v37 offset:104
	;; [unrolled: 5-line block ×4, first 2 shown]
	s_waitcnt lgkmcnt(0)
	s_barrier
	ds_read_u16 v24, v0
	ds_read_u16 v23, v7 offset:78
	ds_read_u16 v22, v7 offset:156
	;; [unrolled: 1-line block ×23, first 2 shown]
	v_cmp_gt_u32_e64 s[0:1], 13, v9
                                        ; implicit-def: $vgpr27
	s_and_saveexec_b64 s[2:3], s[0:1]
	s_cbranch_execz .LBB0_20
; %bb.19:
	ds_read_u16 v16, v7 offset:624
	ds_read_u16 v12, v7 offset:1274
	ds_read_u16 v27, v7 offset:1924
.LBB0_20:
	s_or_b64 exec, exec, s[2:3]
	v_add_f16_e32 v30, v47, v79
	v_add_f16_e32 v30, v30, v80
	v_add_f16_e32 v30, v30, v82
	v_add_f16_e32 v92, v30, v83
	v_add_f16_e32 v30, v80, v82
	v_fma_f16 v30, v30, -0.5, v47
	v_sub_f16_e32 v84, v84, v87
	v_fma_f16 v87, v84, s9, v30
	v_sub_f16_e32 v85, v85, v86
	v_fma_f16 v86, v85, s14, v87
	v_sub_f16_e32 v87, v79, v80
	v_sub_f16_e32 v93, v83, v82
	v_fma_f16 v30, v84, s7, v30
	v_add_f16_e32 v87, v87, v93
	v_fma_f16 v30, v85, s6, v30
	v_fma_f16 v86, v87, s8, v86
	;; [unrolled: 1-line block ×3, first 2 shown]
	v_add_f16_e32 v30, v79, v83
	v_fma_f16 v30, v30, -0.5, v47
	v_fma_f16 v47, v85, s7, v30
	v_sub_f16_e32 v79, v80, v79
	v_sub_f16_e32 v80, v82, v83
	v_fma_f16 v30, v85, s9, v30
	v_fma_f16 v47, v84, s14, v47
	v_add_f16_e32 v79, v79, v80
	v_fma_f16 v30, v84, s6, v30
	v_fma_f16 v47, v79, s8, v47
	;; [unrolled: 1-line block ×3, first 2 shown]
	v_add_f16_e32 v30, v43, v69
	v_add_f16_e32 v30, v30, v71
	v_add_f16_e32 v30, v30, v72
	v_add_f16_e32 v80, v30, v74
	v_add_f16_e32 v30, v71, v72
	v_fma_f16 v30, v30, -0.5, v43
	v_sub_f16_e32 v76, v76, v81
	v_fma_f16 v81, v76, s9, v30
	v_sub_f16_e32 v77, v77, v78
	v_fma_f16 v78, v77, s14, v81
	v_sub_f16_e32 v81, v69, v71
	v_sub_f16_e32 v82, v74, v72
	v_fma_f16 v30, v76, s7, v30
	v_add_f16_e32 v81, v81, v82
	v_fma_f16 v30, v77, s6, v30
	v_fma_f16 v78, v81, s8, v78
	v_fma_f16 v81, v81, s8, v30
	v_add_f16_e32 v30, v69, v74
	v_fma_f16 v30, v30, -0.5, v43
	v_fma_f16 v43, v77, s7, v30
	v_sub_f16_e32 v69, v71, v69
	v_sub_f16_e32 v71, v72, v74
	v_fma_f16 v30, v77, s9, v30
	v_fma_f16 v43, v76, s14, v43
	v_add_f16_e32 v69, v69, v71
	v_fma_f16 v30, v76, s6, v30
	v_fma_f16 v43, v69, s8, v43
	;; [unrolled: 1-line block ×3, first 2 shown]
	v_add_f16_e32 v30, v35, v59
	v_add_f16_e32 v30, v30, v63
	;; [unrolled: 1-line block ×5, first 2 shown]
	v_fma_f16 v30, v30, -0.5, v35
	v_sub_f16_e32 v67, v67, v75
	v_fma_f16 v72, v67, s9, v30
	v_sub_f16_e32 v70, v70, v73
	v_sub_f16_e32 v73, v59, v63
	;; [unrolled: 1-line block ×3, first 2 shown]
	v_fma_f16 v30, v67, s7, v30
	v_fma_f16 v72, v70, s14, v72
	v_add_f16_e32 v73, v73, v74
	v_fma_f16 v30, v70, s6, v30
	v_fma_f16 v72, v73, s8, v72
	;; [unrolled: 1-line block ×3, first 2 shown]
	v_add_f16_e32 v30, v59, v66
	v_fma_f16 v30, v30, -0.5, v35
	v_fma_f16 v35, v70, s7, v30
	v_sub_f16_e32 v59, v63, v59
	v_sub_f16_e32 v63, v64, v66
	v_fma_f16 v30, v70, s9, v30
	v_fma_f16 v35, v67, s14, v35
	v_add_f16_e32 v59, v59, v63
	v_fma_f16 v30, v67, s6, v30
	v_fma_f16 v35, v59, s8, v35
	;; [unrolled: 1-line block ×3, first 2 shown]
	v_add_f16_e32 v30, v25, v52
	v_add_f16_e32 v30, v30, v55
	;; [unrolled: 1-line block ×5, first 2 shown]
	v_fma_f16 v30, v30, -0.5, v25
	v_sub_f16_e32 v60, v60, v68
	v_fma_f16 v64, v60, s9, v30
	v_sub_f16_e32 v62, v62, v65
	v_sub_f16_e32 v65, v52, v55
	;; [unrolled: 1-line block ×3, first 2 shown]
	v_fma_f16 v30, v60, s7, v30
	v_fma_f16 v64, v62, s14, v64
	v_add_f16_e32 v65, v65, v66
	v_fma_f16 v30, v62, s6, v30
	v_fma_f16 v64, v65, s8, v64
	;; [unrolled: 1-line block ×3, first 2 shown]
	v_add_f16_e32 v30, v52, v58
	v_fma_f16 v25, v30, -0.5, v25
	v_fma_f16 v30, v62, s7, v25
	v_sub_f16_e32 v52, v55, v52
	v_sub_f16_e32 v55, v56, v58
	v_fma_f16 v30, v60, s14, v30
	v_add_f16_e32 v52, v52, v55
	v_fma_f16 v55, v52, s8, v30
	v_add_f16_e32 v30, v29, v45
	;; [unrolled: 2-line block ×5, first 2 shown]
	v_add_f16_e32 v30, v49, v50
	v_fma_f16 v30, v30, -0.5, v29
	v_sub_f16_e32 v53, v53, v61
	v_fma_f16 v56, v53, s9, v30
	v_sub_f16_e32 v54, v54, v57
	v_sub_f16_e32 v57, v45, v49
	;; [unrolled: 1-line block ×3, first 2 shown]
	v_fma_f16 v30, v53, s7, v30
	v_fma_f16 v56, v54, s14, v56
	v_add_f16_e32 v57, v57, v58
	v_fma_f16 v30, v54, s6, v30
	v_fma_f16 v56, v57, s8, v56
	v_fma_f16 v30, v57, s8, v30
	v_add_f16_e32 v57, v45, v51
	v_fma_f16 v29, v57, -0.5, v29
	v_fma_f16 v57, v54, s7, v29
	v_sub_f16_e32 v45, v49, v45
	v_sub_f16_e32 v49, v50, v51
	v_fma_f16 v29, v54, s9, v29
	v_fma_f16 v57, v53, s14, v57
	v_add_f16_e32 v45, v45, v49
	v_fma_f16 v29, v53, s6, v29
	v_fma_f16 v49, v45, s8, v57
	;; [unrolled: 1-line block ×3, first 2 shown]
	s_waitcnt lgkmcnt(0)
	s_barrier
	ds_write_b16 v6, v92
	ds_write_b16 v6, v86 offset:26
	ds_write_b16 v6, v47 offset:52
	ds_write_b16 v6, v79 offset:78
	ds_write_b16 v6, v87 offset:104
	ds_write_b16 v88, v80
	ds_write_b16 v88, v78 offset:26
	ds_write_b16 v88, v43 offset:52
	ds_write_b16 v88, v69 offset:78
	ds_write_b16 v88, v81 offset:104
	;; [unrolled: 5-line block ×5, first 2 shown]
	s_waitcnt lgkmcnt(0)
	s_barrier
	ds_read_u16 v50, v0
	ds_read_u16 v49, v7 offset:78
	ds_read_u16 v47, v7 offset:156
	;; [unrolled: 1-line block ×23, first 2 shown]
                                        ; implicit-def: $vgpr52
	s_and_saveexec_b64 s[2:3], s[0:1]
	s_cbranch_execz .LBB0_22
; %bb.21:
	ds_read_u16 v30, v7 offset:624
	ds_read_u16 v14, v7 offset:1274
	;; [unrolled: 1-line block ×3, first 2 shown]
.LBB0_22:
	s_or_b64 exec, exec, s[2:3]
	v_mov_b32_e32 v6, 0
	v_lshlrev_b64 v[68:69], 2, v[5:6]
	v_mov_b32_e32 v70, s13
	v_add_co_u32_e64 v68, s[2:3], s12, v68
	v_addc_co_u32_e64 v69, s[2:3], v70, v69, s[2:3]
	v_subrev_u32_e32 v71, 26, v9
	v_cmp_gt_u32_e64 s[2:3], 26, v9
	v_cndmask_b32_e64 v71, v71, v8, s[2:3]
	v_lshlrev_b32_e32 v71, 1, v71
	v_mov_b32_e32 v72, v6
	v_lshlrev_b64 v[72:73], 2, v[71:72]
	v_add_u32_e32 v5, 26, v5
	v_add_co_u32_e64 v72, s[2:3], s12, v72
	v_lshlrev_b64 v[5:6], 2, v[5:6]
	v_addc_co_u32_e64 v73, s[2:3], v70, v73, s[2:3]
	v_add_co_u32_e64 v5, s[2:3], s12, v5
	v_addc_co_u32_e64 v6, s[2:3], v70, v6, s[2:3]
	s_movk_i32 s2, 0xfd
	v_mul_lo_u16_sdwa v70, v11, s2 dst_sel:DWORD dst_unused:UNUSED_PAD src0_sel:BYTE_0 src1_sel:DWORD
	global_load_dwordx2 v[68:69], v[68:69], off offset:208
	v_lshrrev_b16_e32 v86, 14, v70
	global_load_dwordx2 v[5:6], v[5:6], off offset:208
	v_mul_lo_u16_e32 v70, 0x41, v86
	global_load_dwordx2 v[72:73], v[72:73], off offset:208
	v_sub_u16_e32 v70, v11, v70
	v_mov_b32_e32 v78, 3
	v_lshlrev_b32_sdwa v74, v78, v70 dst_sel:DWORD dst_unused:UNUSED_PAD src0_sel:DWORD src1_sel:BYTE_0
	v_mul_lo_u16_sdwa v76, v15, s2 dst_sel:DWORD dst_unused:UNUSED_PAD src0_sel:BYTE_0 src1_sel:DWORD
	global_load_dwordx2 v[74:75], v74, s[12:13] offset:208
	v_lshrrev_b16_e32 v76, 14, v76
	v_add_u16_e32 v79, 0xc3, v9
	v_mul_lo_u16_e32 v76, 0x41, v76
	v_mul_lo_u16_sdwa v80, v79, s2 dst_sel:DWORD dst_unused:UNUSED_PAD src0_sel:BYTE_0 src1_sel:DWORD
	v_sub_u16_e32 v87, v15, v76
	v_lshrrev_b16_e32 v80, 14, v80
	v_lshlrev_b32_sdwa v76, v78, v87 dst_sel:DWORD dst_unused:UNUSED_PAD src0_sel:DWORD src1_sel:BYTE_0
	global_load_dwordx2 v[76:77], v76, s[12:13] offset:208
	v_mul_lo_u16_e32 v80, 0x41, v80
	v_sub_u16_e32 v88, v79, v80
	v_add_u32_e32 v80, 0xea, v9
	s_movk_i32 s2, 0xfc1
	v_lshlrev_b32_sdwa v78, v78, v88 dst_sel:DWORD dst_unused:UNUSED_PAD src0_sel:DWORD src1_sel:BYTE_0
	global_load_dwordx2 v[78:79], v78, s[12:13] offset:208
	v_mul_u32_u24_sdwa v81, v80, s2 dst_sel:DWORD dst_unused:UNUSED_PAD src0_sel:WORD_0 src1_sel:DWORD
	v_lshrrev_b32_e32 v89, 18, v81
	v_mul_lo_u16_e32 v81, 0x41, v89
	v_sub_u16_e32 v90, v80, v81
	v_add_u32_e32 v82, 0x111, v9
	v_lshlrev_b32_e32 v80, 3, v90
	global_load_dwordx2 v[80:81], v80, s[12:13] offset:208
	v_mul_u32_u24_sdwa v83, v82, s2 dst_sel:DWORD dst_unused:UNUSED_PAD src0_sel:WORD_0 src1_sel:DWORD
	v_lshrrev_b32_e32 v83, 18, v83
	v_mul_lo_u16_e32 v83, 0x41, v83
	v_sub_u16_e32 v91, v82, v83
	v_add_u32_e32 v84, 0x138, v9
	v_lshlrev_b32_e32 v82, 3, v91
	v_mul_u32_u24_sdwa v85, v84, s2 dst_sel:DWORD dst_unused:UNUSED_PAD src0_sel:WORD_0 src1_sel:DWORD
	global_load_dwordx2 v[82:83], v82, s[12:13] offset:208
	v_lshrrev_b32_e32 v85, 18, v85
	v_mul_lo_u16_e32 v85, 0x41, v85
	v_sub_u16_e32 v92, v84, v85
	v_lshlrev_b32_e32 v84, 3, v92
	global_load_dwordx2 v[84:85], v84, s[12:13] offset:208
	s_mov_b32 s6, 0xbaee
	s_movk_i32 s7, 0x3aee
	s_waitcnt vmcnt(0) lgkmcnt(0)
	s_barrier
	v_cmp_lt_u32_e64 s[2:3], 25, v9
	s_movk_i32 s8, 0x186
	v_mul_f16_sdwa v93, v65, v68 dst_sel:DWORD dst_unused:UNUSED_PAD src0_sel:DWORD src1_sel:WORD_1
	v_mul_f16_sdwa v94, v46, v68 dst_sel:DWORD dst_unused:UNUSED_PAD src0_sel:DWORD src1_sel:WORD_1
	;; [unrolled: 1-line block ×4, first 2 shown]
	v_fma_f16 v46, v46, v68, v93
	v_fma_f16 v65, v65, v68, -v94
	v_fma_f16 v48, v48, v69, v95
	v_fma_f16 v68, v66, v69, -v96
	v_mul_f16_sdwa v69, v41, v72 dst_sel:DWORD dst_unused:UNUSED_PAD src0_sel:DWORD src1_sel:WORD_1
	v_mul_f16_sdwa v93, v67, v73 dst_sel:DWORD dst_unused:UNUSED_PAD src0_sel:DWORD src1_sel:WORD_1
	;; [unrolled: 1-line block ×6, first 2 shown]
	v_fma_f16 v69, v63, v72, -v69
	v_fma_f16 v63, v44, v73, v93
	v_fma_f16 v40, v40, v5, v95
	v_fma_f16 v44, v62, v5, -v96
	v_mul_f16_sdwa v5, v64, v6 dst_sel:DWORD dst_unused:UNUSED_PAD src0_sel:DWORD src1_sel:WORD_1
	v_fma_f16 v62, v42, v6, v5
	v_mul_f16_sdwa v5, v42, v6 dst_sel:DWORD dst_unused:UNUSED_PAD src0_sel:DWORD src1_sel:WORD_1
	v_fma_f16 v64, v64, v6, -v5
	v_mul_f16_sdwa v6, v60, v74 dst_sel:DWORD dst_unused:UNUSED_PAD src0_sel:DWORD src1_sel:WORD_1
	v_fma_f16 v66, v41, v72, v66
	v_fma_f16 v41, v38, v74, v6
	v_mul_f16_sdwa v6, v38, v74 dst_sel:DWORD dst_unused:UNUSED_PAD src0_sel:DWORD src1_sel:WORD_1
	v_fma_f16 v42, v60, v74, -v6
	v_mul_f16_sdwa v6, v61, v75 dst_sel:DWORD dst_unused:UNUSED_PAD src0_sel:DWORD src1_sel:WORD_1
	v_fma_f16 v60, v39, v75, v6
	v_mul_f16_sdwa v6, v39, v75 dst_sel:DWORD dst_unused:UNUSED_PAD src0_sel:DWORD src1_sel:WORD_1
	v_fma_f16 v61, v61, v75, -v6
	v_mul_f16_sdwa v6, v58, v76 dst_sel:DWORD dst_unused:UNUSED_PAD src0_sel:DWORD src1_sel:WORD_1
	v_mov_b32_e32 v5, 1
	v_fma_f16 v38, v36, v76, v6
	v_mul_f16_sdwa v6, v36, v76 dst_sel:DWORD dst_unused:UNUSED_PAD src0_sel:DWORD src1_sel:WORD_1
	v_fma_f16 v67, v67, v73, -v94
	v_lshlrev_b32_sdwa v72, v5, v70 dst_sel:DWORD dst_unused:UNUSED_PAD src0_sel:DWORD src1_sel:BYTE_0
	v_lshlrev_b32_sdwa v73, v5, v87 dst_sel:DWORD dst_unused:UNUSED_PAD src0_sel:DWORD src1_sel:BYTE_0
	v_fma_f16 v39, v58, v76, -v6
	v_mul_f16_sdwa v6, v59, v77 dst_sel:DWORD dst_unused:UNUSED_PAD src0_sel:DWORD src1_sel:WORD_1
	v_lshlrev_b32_sdwa v74, v5, v88 dst_sel:DWORD dst_unused:UNUSED_PAD src0_sel:DWORD src1_sel:BYTE_0
	v_mul_f16_sdwa v5, v56, v78 dst_sel:DWORD dst_unused:UNUSED_PAD src0_sel:DWORD src1_sel:WORD_1
	v_fma_f16 v58, v37, v77, v6
	v_mul_f16_sdwa v6, v37, v77 dst_sel:DWORD dst_unused:UNUSED_PAD src0_sel:DWORD src1_sel:WORD_1
	v_fma_f16 v37, v33, v78, v5
	v_mul_f16_sdwa v5, v33, v78 dst_sel:DWORD dst_unused:UNUSED_PAD src0_sel:DWORD src1_sel:WORD_1
	v_fma_f16 v56, v56, v78, -v5
	v_mul_f16_sdwa v5, v57, v79 dst_sel:DWORD dst_unused:UNUSED_PAD src0_sel:DWORD src1_sel:WORD_1
	v_fma_f16 v70, v59, v77, -v6
	v_fma_f16 v59, v34, v79, v5
	v_mul_f16_sdwa v5, v34, v79 dst_sel:DWORD dst_unused:UNUSED_PAD src0_sel:DWORD src1_sel:WORD_1
	v_fma_f16 v57, v57, v79, -v5
	v_mul_f16_sdwa v5, v54, v80 dst_sel:DWORD dst_unused:UNUSED_PAD src0_sel:DWORD src1_sel:WORD_1
	v_fma_f16 v33, v31, v80, v5
	v_mul_f16_sdwa v5, v31, v80 dst_sel:DWORD dst_unused:UNUSED_PAD src0_sel:DWORD src1_sel:WORD_1
	v_fma_f16 v34, v54, v80, -v5
	v_mul_f16_sdwa v5, v55, v81 dst_sel:DWORD dst_unused:UNUSED_PAD src0_sel:DWORD src1_sel:WORD_1
	;; [unrolled: 4-line block ×5, first 2 shown]
	v_fma_f16 v5, v12, v84, v5
	v_mul_f16_sdwa v6, v12, v84 dst_sel:DWORD dst_unused:UNUSED_PAD src0_sel:DWORD src1_sel:WORD_1
	v_mul_f16_sdwa v12, v52, v85 dst_sel:DWORD dst_unused:UNUSED_PAD src0_sel:DWORD src1_sel:WORD_1
	v_fma_f16 v6, v14, v84, -v6
	v_fma_f16 v32, v27, v85, v12
	v_mul_f16_sdwa v12, v27, v85 dst_sel:DWORD dst_unused:UNUSED_PAD src0_sel:DWORD src1_sel:WORD_1
	v_add_f16_e32 v14, v46, v48
	v_fma_f16 v36, v52, v85, -v12
	v_add_f16_e32 v12, v24, v46
	v_fma_f16 v14, v14, -0.5, v24
	v_sub_f16_e32 v24, v65, v68
	v_add_f16_e32 v52, v66, v63
	v_fma_f16 v27, v24, s6, v14
	v_fma_f16 v14, v24, s7, v14
	v_add_f16_e32 v24, v23, v66
	v_fma_f16 v23, v52, -0.5, v23
	v_sub_f16_e32 v52, v69, v67
	v_add_f16_e32 v53, v40, v62
	v_fma_f16 v77, v52, s6, v23
	v_fma_f16 v23, v52, s7, v23
	v_add_f16_e32 v52, v22, v40
	v_fma_f16 v22, v53, -0.5, v22
	v_sub_f16_e32 v53, v44, v64
	v_fma_f16 v78, v53, s6, v22
	v_fma_f16 v22, v53, s7, v22
	v_add_f16_e32 v53, v21, v41
	v_add_f16_e32 v79, v53, v60
	v_add_f16_e32 v53, v41, v60
	v_fma_f16 v21, v53, -0.5, v21
	v_sub_f16_e32 v53, v42, v61
	v_fma_f16 v80, v53, s6, v21
	v_fma_f16 v21, v53, s7, v21
	v_add_f16_e32 v53, v20, v38
	v_add_f16_e32 v81, v53, v58
	;; [unrolled: 7-line block ×4, first 2 shown]
	v_add_f16_e32 v53, v33, v54
	v_add_f16_e32 v12, v12, v48
	v_fma_f16 v18, v53, -0.5, v18
	v_sub_f16_e32 v53, v34, v55
	v_fma_f16 v87, v53, s6, v18
	v_fma_f16 v18, v53, s7, v18
	v_add_f16_e32 v53, v17, v31
	ds_write_b16 v7, v12
	ds_write_b16 v7, v27 offset:130
	ds_write_b16 v7, v14 offset:260
	v_mov_b32_e32 v12, 0x186
	v_add_f16_e32 v88, v53, v51
	v_add_f16_e32 v53, v31, v51
	v_cndmask_b32_e64 v12, 0, v12, s[2:3]
	v_fma_f16 v17, v53, -0.5, v17
	v_sub_f16_e32 v53, v26, v28
	v_add_u32_e32 v12, 0, v12
	v_lshlrev_b32_e32 v75, 1, v90
	v_fma_f16 v90, v53, s6, v17
	v_fma_f16 v17, v53, s7, v17
	v_add3_u32 v53, v12, v71, v13
	v_mad_u32_u24 v12, v86, s8, 0
	v_lshlrev_b32_e32 v76, 1, v91
	v_add_f16_e32 v24, v24, v63
	v_add_f16_e32 v52, v52, v62
	v_add3_u32 v72, v12, v72, v13
	v_mad_u32_u24 v12, v89, s8, 0
	ds_write_b16 v53, v24
	ds_write_b16 v53, v77 offset:130
	ds_write_b16 v53, v23 offset:260
	v_add_u32_e32 v71, 26, v7
	ds_write_b16 v7, v52 offset:416
	ds_write_b16 v7, v78 offset:546
	;; [unrolled: 1-line block ×3, first 2 shown]
	v_add3_u32 v73, 0, v73, v13
	v_add3_u32 v74, 0, v74, v13
	;; [unrolled: 1-line block ×4, first 2 shown]
	v_lshlrev_b32_e32 v52, 1, v92
	ds_write_b16 v72, v79
	ds_write_b16 v72, v80 offset:130
	ds_write_b16 v72, v21 offset:260
	ds_write_b16 v73, v81 offset:780
	ds_write_b16 v73, v82 offset:910
	ds_write_b16 v73, v20 offset:1040
	ds_write_b16 v74, v83 offset:1170
	ds_write_b16 v74, v84 offset:1300
	ds_write_b16 v74, v19 offset:1430
	ds_write_b16 v75, v85
	ds_write_b16 v75, v87 offset:130
	ds_write_b16 v75, v18 offset:260
	;; [unrolled: 1-line block ×5, first 2 shown]
	s_and_saveexec_b64 s[2:3], s[0:1]
	s_cbranch_execz .LBB0_24
; %bb.23:
	v_add_f16_e32 v14, v5, v32
	v_fma_f16 v14, v14, -0.5, v16
	v_add_f16_e32 v16, v16, v5
	v_add3_u32 v12, 0, v52, v13
	v_sub_f16_e32 v17, v6, v36
	v_add_f16_e32 v16, v16, v32
	v_fma_f16 v18, v17, s7, v14
	v_fma_f16 v14, v17, s6, v14
	ds_write_b16 v12, v16 offset:1560
	ds_write_b16 v12, v14 offset:1690
	;; [unrolled: 1-line block ×3, first 2 shown]
.LBB0_24:
	s_or_b64 exec, exec, s[2:3]
	v_add_f16_e32 v12, v50, v65
	v_add_f16_e32 v77, v12, v68
	v_add_f16_e32 v12, v65, v68
	v_fma_f16 v12, v12, -0.5, v50
	v_sub_f16_e32 v14, v46, v48
	v_fma_f16 v46, v14, s7, v12
	v_fma_f16 v48, v14, s6, v12
	v_add_f16_e32 v12, v49, v69
	v_add_f16_e32 v50, v12, v67
	v_add_f16_e32 v12, v69, v67
	v_fma_f16 v12, v12, -0.5, v49
	v_sub_f16_e32 v14, v66, v63
	v_fma_f16 v49, v14, s7, v12
	v_fma_f16 v63, v14, s6, v12
	;; [unrolled: 7-line block ×8, first 2 shown]
	s_waitcnt lgkmcnt(0)
	s_barrier
	ds_read_u16 v20, v7 offset:468
	ds_read_u16 v25, v7 offset:546
	ds_read_u16 v12, v0
	ds_read_u16 v19, v7 offset:78
	ds_read_u16 v24, v7 offset:156
	ds_read_u16 v29, v7 offset:234
	ds_read_u16 v39, v7 offset:624
	ds_read_u16 v22, v7 offset:858
	ds_read_u16 v26, v7 offset:936
	ds_read_u16 v37, v7 offset:1014
	ds_read_u16 v23, v7 offset:1248
	ds_read_u16 v27, v7 offset:1326
	ds_read_u16 v38, v7 offset:1404
	ds_read_u16 v21, v7 offset:1638
	ds_read_u16 v28, v7 offset:1716
	ds_read_u16 v41, v7 offset:1794
	ds_read_u16 v17, v7 offset:390
	ds_read_u16 v40, v7 offset:312
	ds_read_u16 v14, v7 offset:1170
	ds_read_u16 v33, v7 offset:1092
	ds_read_u16 v16, v7 offset:780
	ds_read_u16 v31, v7 offset:702
	ds_read_u16 v18, v7 offset:1560
	ds_read_u16 v35, v7 offset:1482
	ds_read_u16 v34, v7 offset:1872
	s_waitcnt lgkmcnt(0)
	s_barrier
	ds_write_b16 v7, v77
	ds_write_b16 v7, v46 offset:130
	ds_write_b16 v7, v48 offset:260
	ds_write_b16 v53, v50
	ds_write_b16 v53, v49 offset:130
	ds_write_b16 v53, v63 offset:260
	;; [unrolled: 1-line block ×5, first 2 shown]
	ds_write_b16 v72, v62
	ds_write_b16 v72, v42 offset:130
	ds_write_b16 v72, v45 offset:260
	;; [unrolled: 1-line block ×8, first 2 shown]
	ds_write_b16 v75, v59
	ds_write_b16 v75, v54 offset:130
	ds_write_b16 v75, v55 offset:260
	;; [unrolled: 1-line block ×5, first 2 shown]
	s_and_saveexec_b64 s[2:3], s[0:1]
	s_cbranch_execz .LBB0_26
; %bb.25:
	v_add_f16_e32 v42, v30, v6
	v_add_f16_e32 v6, v6, v36
	v_fma_f16 v6, v6, -0.5, v30
	v_sub_f16_e32 v5, v5, v32
	s_movk_i32 s0, 0x3aee
	v_fma_f16 v30, v5, s0, v6
	s_mov_b32 s0, 0xbaee
	v_add_f16_e32 v42, v42, v36
	v_fma_f16 v5, v5, s0, v6
	v_add3_u32 v6, 0, v52, v13
	ds_write_b16 v6, v42 offset:1560
	ds_write_b16 v6, v30 offset:1690
	;; [unrolled: 1-line block ×3, first 2 shown]
.LBB0_26:
	s_or_b64 exec, exec, s[2:3]
	s_waitcnt lgkmcnt(0)
	s_barrier
	s_and_saveexec_b64 s[0:1], vcc
	s_cbranch_execz .LBB0_28
; %bb.27:
	v_lshlrev_b32_e32 v5, 2, v15
	v_mov_b32_e32 v6, 0
	v_lshlrev_b64 v[42:43], 2, v[5:6]
	v_mov_b32_e32 v32, s13
	v_add_co_u32_e32 v42, vcc, s12, v42
	v_addc_co_u32_e32 v43, vcc, v32, v43, vcc
	global_load_dwordx4 v[42:45], v[42:43], off offset:728
	v_lshlrev_b32_e32 v5, 2, v11
	v_lshlrev_b64 v[46:47], 2, v[5:6]
	ds_read_u16 v30, v7 offset:1872
	v_add_co_u32_e32 v46, vcc, s12, v46
	v_addc_co_u32_e32 v47, vcc, v32, v47, vcc
	ds_read_u16 v50, v7 offset:1170
	ds_read_u16 v36, v7 offset:1092
	;; [unrolled: 1-line block ×12, first 2 shown]
	global_load_dwordx4 v[46:49], v[46:47], off offset:728
	v_mul_lo_u32 v13, s5, v3
	v_mul_lo_u32 v15, s4, v4
	v_mad_u64_u32 v[3:4], s[0:1], s4, v3, 0
	ds_read_u16 v5, v7 offset:1482
	ds_read_u16 v61, v7 offset:1404
	ds_read_u16 v62, v7 offset:546
	ds_read_u16 v63, v7 offset:468
	ds_read_u16 v64, v7 offset:390
	ds_read_u16 v11, v7 offset:312
	ds_read_u16 v65, v7 offset:234
	s_movk_i32 s0, 0x3b9c
	v_add3_u32 v4, v4, v15, v13
	s_mov_b32 s3, 0xbb9c
	s_mov_b32 s1, 0xb8b4
	s_movk_i32 s4, 0x38b4
	s_movk_i32 s2, 0x34f2
	v_lshlrev_b64 v[3:4], 2, v[3:4]
	ds_read_u16 v0, v0
	s_waitcnt vmcnt(1)
	v_mul_f16_sdwa v13, v33, v43 dst_sel:DWORD dst_unused:UNUSED_PAD src0_sel:DWORD src1_sel:WORD_1
	v_mul_f16_sdwa v15, v31, v42 dst_sel:DWORD dst_unused:UNUSED_PAD src0_sel:DWORD src1_sel:WORD_1
	;; [unrolled: 1-line block ×4, first 2 shown]
	s_waitcnt lgkmcnt(14)
	v_mul_f16_sdwa v68, v36, v43 dst_sel:DWORD dst_unused:UNUSED_PAD src0_sel:DWORD src1_sel:WORD_1
	s_waitcnt lgkmcnt(7)
	v_mul_f16_sdwa v69, v5, v44 dst_sel:DWORD dst_unused:UNUSED_PAD src0_sel:DWORD src1_sel:WORD_1
	v_mul_f16_sdwa v70, v55, v42 dst_sel:DWORD dst_unused:UNUSED_PAD src0_sel:DWORD src1_sel:WORD_1
	;; [unrolled: 1-line block ×3, first 2 shown]
	v_fma_f16 v36, v36, v43, -v13
	v_fma_f16 v55, v55, v42, -v15
	;; [unrolled: 1-line block ×4, first 2 shown]
	v_fma_f16 v43, v33, v43, v68
	v_fma_f16 v44, v35, v44, v69
	v_sub_f16_e32 v13, v36, v55
	v_sub_f16_e32 v15, v5, v30
	v_add_f16_e32 v33, v55, v30
	v_sub_f16_e32 v35, v55, v36
	v_sub_f16_e32 v66, v30, v5
	s_waitcnt lgkmcnt(2)
	v_add_f16_e32 v68, v55, v11
	v_fma_f16 v42, v31, v42, v70
	v_fma_f16 v45, v34, v45, v71
	v_sub_f16_e32 v31, v43, v44
	v_add_f16_e32 v67, v36, v5
	v_add_f16_e32 v15, v13, v15
	v_fma_f16 v13, v33, -0.5, v11
	v_add_f16_e32 v33, v35, v66
	v_add_f16_e32 v35, v36, v68
	v_sub_f16_e32 v34, v42, v45
	v_fma_f16 v11, v67, -0.5, v11
	v_fma_f16 v66, v31, s0, v13
	v_fma_f16 v13, v31, s3, v13
	v_add_f16_e32 v35, v5, v35
	v_fma_f16 v67, v34, s3, v11
	v_fma_f16 v11, v34, s0, v11
	;; [unrolled: 1-line block ×4, first 2 shown]
	v_add_f16_e32 v35, v30, v35
	v_sub_f16_e32 v55, v55, v30
	v_add_f16_e32 v30, v42, v45
	v_fma_f16 v67, v31, s1, v67
	v_fma_f16 v31, v31, s4, v11
	;; [unrolled: 1-line block ×4, first 2 shown]
	v_fma_f16 v34, v30, -0.5, v40
	v_sub_f16_e32 v5, v36, v5
	v_sub_f16_e32 v69, v43, v42
	v_fma_f16 v11, v33, s2, v67
	v_fma_f16 v33, v33, s2, v31
	v_sub_f16_e32 v31, v44, v45
	v_fma_f16 v30, v5, s3, v34
	v_fma_f16 v34, v5, s0, v34
	v_add_f16_e32 v31, v69, v31
	v_fma_f16 v30, v55, s4, v30
	v_fma_f16 v34, v55, s1, v34
	;; [unrolled: 1-line block ×4, first 2 shown]
	v_sub_f16_e32 v31, v42, v43
	v_sub_f16_e32 v36, v45, v44
	v_add_f16_e32 v36, v31, v36
	v_add_f16_e32 v31, v43, v44
	v_fma_f16 v66, v31, -0.5, v40
	v_fma_f16 v31, v55, s0, v66
	v_fma_f16 v55, v55, s3, v66
	;; [unrolled: 1-line block ×6, first 2 shown]
	v_add_f16_e32 v5, v40, v42
	v_add_f16_e32 v5, v43, v5
	;; [unrolled: 1-line block ×4, first 2 shown]
	s_waitcnt vmcnt(0)
	v_mul_f16_sdwa v5, v39, v46 dst_sel:DWORD dst_unused:UNUSED_PAD src0_sel:DWORD src1_sel:WORD_1
	v_fma_f16 v55, v56, v46, -v5
	v_lshlrev_b32_e32 v5, 2, v10
	v_lshlrev_b64 v[42:43], 2, v[5:6]
	v_mul_f16_sdwa v5, v37, v47 dst_sel:DWORD dst_unused:UNUSED_PAD src0_sel:DWORD src1_sel:WORD_1
	v_add_co_u32_e32 v42, vcc, s12, v42
	v_addc_co_u32_e32 v43, vcc, v32, v43, vcc
	global_load_dwordx4 v[42:45], v[42:43], off offset:728
	v_mul_f16_sdwa v66, v41, v49 dst_sel:DWORD dst_unused:UNUSED_PAD src0_sel:DWORD src1_sel:WORD_1
	v_mul_f16_sdwa v67, v38, v48 dst_sel:DWORD dst_unused:UNUSED_PAD src0_sel:DWORD src1_sel:WORD_1
	v_fma_f16 v5, v51, v47, -v5
	v_fma_f16 v66, v57, v49, -v66
	;; [unrolled: 1-line block ×3, first 2 shown]
	v_sub_f16_e32 v10, v55, v5
	v_sub_f16_e32 v69, v66, v67
	v_add_f16_e32 v69, v10, v69
	v_add_f16_e32 v10, v5, v67
	s_waitcnt lgkmcnt(1)
	v_fma_f16 v71, v10, -0.5, v65
	v_mul_f16_sdwa v10, v56, v46 dst_sel:DWORD dst_unused:UNUSED_PAD src0_sel:DWORD src1_sel:WORD_1
	v_fma_f16 v39, v39, v46, v10
	v_mul_f16_sdwa v10, v57, v49 dst_sel:DWORD dst_unused:UNUSED_PAD src0_sel:DWORD src1_sel:WORD_1
	v_fma_f16 v41, v41, v49, v10
	;; [unrolled: 2-line block ×3, first 2 shown]
	v_mul_f16_sdwa v37, v61, v48 dst_sel:DWORD dst_unused:UNUSED_PAD src0_sel:DWORD src1_sel:WORD_1
	v_sub_f16_e32 v61, v5, v55
	v_sub_f16_e32 v72, v67, v66
	v_fma_f16 v38, v38, v48, v37
	v_add_f16_e32 v61, v61, v72
	v_add_f16_e32 v72, v55, v66
	v_sub_f16_e32 v48, v47, v38
	v_fma_f16 v72, v72, -0.5, v65
	v_sub_f16_e32 v46, v39, v41
	v_sub_f16_e32 v37, v39, v47
	;; [unrolled: 1-line block ×3, first 2 shown]
	v_fma_f16 v73, v48, s0, v72
	v_fma_f16 v72, v48, s3, v72
	;; [unrolled: 1-line block ×3, first 2 shown]
	v_add_f16_e32 v49, v37, v49
	v_add_f16_e32 v37, v47, v38
	v_fma_f16 v73, v46, s1, v73
	v_fma_f16 v72, v46, s4, v72
	;; [unrolled: 1-line block ×4, first 2 shown]
	v_fma_f16 v51, v37, -0.5, v29
	v_sub_f16_e32 v56, v55, v66
	v_fma_f16 v46, v48, s4, v46
	v_fma_f16 v10, v69, s2, v10
	v_sub_f16_e32 v57, v5, v67
	v_fma_f16 v69, v69, s2, v46
	v_fma_f16 v46, v56, s3, v51
	;; [unrolled: 1-line block ×5, first 2 shown]
	v_add_f16_e32 v46, v55, v65
	v_add_f16_e32 v5, v5, v46
	;; [unrolled: 1-line block ×5, first 2 shown]
	v_sub_f16_e32 v74, v47, v39
	v_sub_f16_e32 v75, v38, v41
	v_add_f16_e32 v5, v5, v47
	v_add_f16_e32 v74, v74, v75
	v_add_f16_e32 v75, v39, v41
	v_add_f16_e32 v5, v5, v38
	v_fma_f16 v75, v75, -0.5, v29
	v_add_f16_e32 v29, v41, v5
	v_lshlrev_b32_e32 v5, 2, v8
	ds_read_u16 v68, v7 offset:1326
	v_lshlrev_b64 v[38:39], 2, v[5:6]
	ds_read_u16 v70, v7 offset:156
	v_add_co_u32_e32 v38, vcc, s12, v38
	v_fma_f16 v37, v57, s4, v37
	v_addc_co_u32_e32 v39, vcc, v32, v39, vcc
	v_fma_f16 v37, v49, s2, v37
	v_fma_f16 v73, v61, s2, v73
	;; [unrolled: 1-line block ×5, first 2 shown]
	global_load_dwordx4 v[46:49], v[38:39], off offset:728
	v_fma_f16 v76, v56, s4, v76
	v_fma_f16 v72, v56, s1, v72
	ds_read_u16 v56, v7 offset:1248
	ds_read_u16 v65, v7 offset:78
	v_fma_f16 v76, v74, s2, v76
	s_waitcnt vmcnt(1)
	v_mul_f16_sdwa v5, v25, v42 dst_sel:DWORD dst_unused:UNUSED_PAD src0_sel:DWORD src1_sel:WORD_1
	v_mul_f16_sdwa v8, v26, v43 dst_sel:DWORD dst_unused:UNUSED_PAD src0_sel:DWORD src1_sel:WORD_1
	;; [unrolled: 1-line block ×4, first 2 shown]
	v_fma_f16 v5, v62, v42, -v5
	v_fma_f16 v8, v52, v43, -v8
	;; [unrolled: 1-line block ×3, first 2 shown]
	s_waitcnt lgkmcnt(3)
	v_fma_f16 v41, v68, v44, -v41
	v_sub_f16_e32 v38, v5, v8
	v_sub_f16_e32 v57, v39, v41
	v_add_f16_e32 v38, v38, v57
	v_add_f16_e32 v57, v8, v41
	s_waitcnt lgkmcnt(2)
	v_fma_f16 v7, v57, -0.5, v70
	v_mul_f16_sdwa v57, v62, v42 dst_sel:DWORD dst_unused:UNUSED_PAD src0_sel:DWORD src1_sel:WORD_1
	v_fma_f16 v42, v25, v42, v57
	v_mul_f16_sdwa v25, v58, v45 dst_sel:DWORD dst_unused:UNUSED_PAD src0_sel:DWORD src1_sel:WORD_1
	v_mul_f16_sdwa v52, v52, v43 dst_sel:DWORD dst_unused:UNUSED_PAD src0_sel:DWORD src1_sel:WORD_1
	v_fma_f16 v45, v28, v45, v25
	v_fma_f16 v43, v26, v43, v52
	v_mul_f16_sdwa v26, v68, v44 dst_sel:DWORD dst_unused:UNUSED_PAD src0_sel:DWORD src1_sel:WORD_1
	v_sub_f16_e32 v25, v42, v45
	v_fma_f16 v44, v27, v44, v26
	v_fma_f16 v28, v25, s3, v7
	v_sub_f16_e32 v26, v43, v44
	v_fma_f16 v27, v26, s1, v28
	v_fma_f16 v52, v38, s2, v27
	v_sub_f16_e32 v27, v42, v43
	v_sub_f16_e32 v28, v45, v44
	;; [unrolled: 1-line block ×4, first 2 shown]
	v_fma_f16 v72, v74, s2, v72
	v_add_f16_e32 v57, v27, v28
	v_sub_f16_e32 v28, v5, v39
	v_add_f16_e32 v66, v66, v67
	v_add_f16_e32 v67, v5, v39
	v_sub_f16_e32 v71, v43, v42
	v_sub_f16_e32 v74, v44, v45
	v_add_f16_e32 v5, v5, v70
	v_add_f16_e32 v71, v71, v74
	;; [unrolled: 1-line block ×4, first 2 shown]
	v_sub_f16_e32 v62, v8, v41
	v_fma_f16 v74, v74, -0.5, v24
	v_add_f16_e32 v5, v41, v5
	v_add_f16_e32 v39, v39, v5
	v_fma_f16 v5, v62, s0, v74
	v_fma_f16 v7, v25, s0, v7
	;; [unrolled: 1-line block ×5, first 2 shown]
	v_lshlrev_b32_e32 v5, 2, v9
	v_fma_f16 v38, v38, s2, v7
	v_lshlrev_b64 v[7:8], 2, v[5:6]
	v_fma_f16 v67, v67, -0.5, v70
	v_add_f16_e32 v27, v43, v44
	v_fma_f16 v68, v26, s0, v67
	v_fma_f16 v67, v26, s3, v67
	v_add_co_u32_e32 v7, vcc, s12, v7
	v_fma_f16 v27, v27, -0.5, v24
	v_fma_f16 v68, v25, s1, v68
	v_fma_f16 v75, v62, s3, v74
	;; [unrolled: 1-line block ×3, first 2 shown]
	v_addc_co_u32_e32 v8, vcc, v32, v8, vcc
	v_fma_f16 v58, v28, s0, v27
	v_fma_f16 v68, v66, s2, v68
	;; [unrolled: 1-line block ×5, first 2 shown]
	global_load_dwordx4 v[25:28], v[7:8], off offset:728
	v_fma_f16 v5, v62, s1, v67
	v_fma_f16 v7, v57, s2, v5
	v_add_f16_e32 v5, v24, v42
	v_add_f16_e32 v5, v5, v43
	;; [unrolled: 1-line block ×4, first 2 shown]
	s_waitcnt vmcnt(1)
	v_mul_f16_sdwa v5, v20, v46 dst_sel:DWORD dst_unused:UNUSED_PAD src0_sel:DWORD src1_sel:WORD_1
	v_mul_f16_sdwa v24, v22, v47 dst_sel:DWORD dst_unused:UNUSED_PAD src0_sel:DWORD src1_sel:WORD_1
	;; [unrolled: 1-line block ×4, first 2 shown]
	v_fma_f16 v5, v63, v46, -v5
	v_fma_f16 v24, v53, v47, -v24
	;; [unrolled: 1-line block ×3, first 2 shown]
	s_waitcnt lgkmcnt(1)
	v_fma_f16 v43, v56, v48, -v43
	v_sub_f16_e32 v32, v5, v24
	v_sub_f16_e32 v44, v42, v43
	v_add_f16_e32 v32, v32, v44
	v_mul_f16_sdwa v44, v53, v47 dst_sel:DWORD dst_unused:UNUSED_PAD src0_sel:DWORD src1_sel:WORD_1
	v_mul_f16_sdwa v45, v63, v46 dst_sel:DWORD dst_unused:UNUSED_PAD src0_sel:DWORD src1_sel:WORD_1
	v_fma_f16 v58, v62, s4, v58
	v_fma_f16 v22, v22, v47, v44
	v_mul_f16_sdwa v44, v56, v48 dst_sel:DWORD dst_unused:UNUSED_PAD src0_sel:DWORD src1_sel:WORD_1
	v_fma_f16 v20, v20, v46, v45
	v_mul_f16_sdwa v45, v59, v49 dst_sel:DWORD dst_unused:UNUSED_PAD src0_sel:DWORD src1_sel:WORD_1
	s_waitcnt lgkmcnt(0)
	v_add_f16_e32 v59, v5, v65
	v_fma_f16 v58, v57, s2, v58
	v_fma_f16 v23, v23, v48, v44
	v_add_f16_e32 v46, v24, v43
	v_sub_f16_e32 v53, v5, v42
	v_sub_f16_e32 v57, v24, v43
	v_add_f16_e32 v59, v24, v59
	v_sub_f16_e32 v24, v24, v5
	v_add_f16_e32 v5, v5, v42
	v_sub_f16_e32 v44, v22, v23
	v_fma_f16 v21, v21, v49, v45
	v_add_f16_e32 v59, v43, v59
	v_fma_f16 v5, v5, -0.5, v65
	v_sub_f16_e32 v45, v20, v21
	v_add_f16_e32 v59, v42, v59
	v_sub_f16_e32 v43, v43, v42
	v_fma_f16 v42, v44, s0, v5
	v_fma_f16 v5, v44, s3, v5
	v_fma_f16 v46, v46, -0.5, v65
	v_add_f16_e32 v24, v24, v43
	v_fma_f16 v42, v45, s1, v42
	v_fma_f16 v5, v45, s4, v5
	v_fma_f16 v47, v45, s0, v46
	v_fma_f16 v42, v24, s2, v42
	v_fma_f16 v24, v24, s2, v5
	v_fma_f16 v5, v45, s3, v46
	v_fma_f16 v47, v44, s4, v47
	v_sub_f16_e32 v48, v20, v22
	v_sub_f16_e32 v49, v21, v23
	v_fma_f16 v5, v44, s1, v5
	v_fma_f16 v47, v32, s2, v47
	v_add_f16_e32 v48, v48, v49
	v_add_f16_e32 v49, v22, v23
	v_add_f16_e32 v62, v19, v20
	v_fma_f16 v32, v32, s2, v5
	v_sub_f16_e32 v5, v22, v20
	v_add_f16_e32 v20, v20, v21
	v_fma_f16 v49, v49, -0.5, v19
	v_fma_f16 v19, v20, -0.5, v19
	v_add_f16_e32 v62, v62, v22
	v_sub_f16_e32 v22, v23, v21
	v_fma_f16 v20, v57, s3, v19
	v_fma_f16 v19, v57, s0, v19
	v_add_f16_e32 v5, v5, v22
	v_fma_f16 v20, v53, s4, v20
	v_fma_f16 v19, v53, s1, v19
	;; [unrolled: 1-line block ×5, first 2 shown]
	v_add_f16_e32 v62, v62, v23
	v_fma_f16 v5, v57, s4, v5
	v_add_f16_e32 v62, v21, v62
	v_fma_f16 v21, v48, s2, v5
	v_fma_f16 v56, v53, s3, v49
	;; [unrolled: 1-line block ×3, first 2 shown]
	s_waitcnt vmcnt(0)
	v_mul_f16_sdwa v5, v17, v25 dst_sel:DWORD dst_unused:UNUSED_PAD src0_sel:DWORD src1_sel:WORD_1
	v_mul_f16_sdwa v22, v16, v26 dst_sel:DWORD dst_unused:UNUSED_PAD src0_sel:DWORD src1_sel:WORD_1
	;; [unrolled: 1-line block ×4, first 2 shown]
	v_fma_f16 v5, v64, v25, -v5
	v_fma_f16 v22, v54, v26, -v22
	;; [unrolled: 1-line block ×4, first 2 shown]
	v_mul_f16_sdwa v46, v64, v25 dst_sel:DWORD dst_unused:UNUSED_PAD src0_sel:DWORD src1_sel:WORD_1
	v_sub_f16_e32 v23, v5, v22
	v_sub_f16_e32 v45, v43, v44
	v_fma_f16 v17, v17, v25, v46
	v_mul_f16_sdwa v25, v60, v28 dst_sel:DWORD dst_unused:UNUSED_PAD src0_sel:DWORD src1_sel:WORD_1
	v_mul_f16_sdwa v46, v54, v26 dst_sel:DWORD dst_unused:UNUSED_PAD src0_sel:DWORD src1_sel:WORD_1
	v_add_f16_e32 v23, v23, v45
	v_add_f16_e32 v45, v22, v44
	v_fma_f16 v18, v18, v28, v25
	v_fma_f16 v16, v16, v26, v46
	v_mul_f16_sdwa v26, v50, v27 dst_sel:DWORD dst_unused:UNUSED_PAD src0_sel:DWORD src1_sel:WORD_1
	v_fma_f16 v45, v45, -0.5, v0
	v_sub_f16_e32 v25, v17, v18
	v_fma_f16 v14, v14, v27, v26
	v_sub_f16_e32 v53, v22, v5
	v_sub_f16_e32 v54, v44, v43
	v_fma_f16 v28, v25, s3, v45
	v_sub_f16_e32 v26, v16, v14
	v_add_f16_e32 v53, v53, v54
	v_add_f16_e32 v54, v5, v43
	v_fma_f16 v27, v26, s1, v28
	v_sub_f16_e32 v28, v17, v16
	v_sub_f16_e32 v46, v18, v14
	v_fma_f16 v54, v54, -0.5, v0
	v_sub_f16_e32 v60, v16, v17
	v_sub_f16_e32 v63, v14, v18
	v_add_f16_e32 v28, v28, v46
	v_add_f16_e32 v46, v16, v14
	v_fma_f16 v57, v26, s0, v54
	v_add_f16_e32 v60, v60, v63
	v_add_f16_e32 v63, v17, v18
	v_fma_f16 v54, v26, s3, v54
	v_fma_f16 v56, v48, s2, v56
	v_fma_f16 v46, v46, -0.5, v12
	v_sub_f16_e32 v48, v5, v43
	v_sub_f16_e32 v50, v22, v44
	v_fma_f16 v57, v25, s1, v57
	v_fma_f16 v63, v63, -0.5, v12
	v_fma_f16 v54, v25, s4, v54
	v_fma_f16 v49, v48, s0, v46
	v_fma_f16 v57, v53, s2, v57
	v_fma_f16 v53, v53, s2, v54
	v_fma_f16 v54, v50, s0, v63
	v_fma_f16 v25, v25, s0, v45
	s_mov_b32 s0, 0x50150151
	v_add_f16_e32 v0, v5, v0
	v_mul_hi_u32 v5, v9, s0
	v_add_f16_e32 v0, v22, v0
	v_add_f16_e32 v0, v44, v0
	;; [unrolled: 1-line block ×4, first 2 shown]
	v_sub_u32_e32 v12, v9, v5
	v_fma_f16 v25, v26, s4, v25
	v_lshrrev_b32_e32 v12, 1, v12
	v_fma_f16 v27, v23, s2, v27
	v_fma_f16 v23, v23, s2, v25
	;; [unrolled: 1-line block ×3, first 2 shown]
	v_add_u32_e32 v5, v12, v5
	v_fma_f16 v54, v48, s1, v54
	v_fma_f16 v25, v50, s1, v25
	v_lshrrev_b32_e32 v5, 7, v5
	s_movk_i32 s1, 0xc3
	v_add_f16_e32 v0, v0, v16
	v_mul_lo_u32 v5, v5, s1
	v_add_f16_e32 v0, v0, v14
	v_add_f16_e32 v12, v18, v0
	v_mov_b32_e32 v0, s11
	v_add_co_u32_e32 v3, vcc, s10, v3
	v_addc_co_u32_e32 v4, vcc, v0, v4, vcc
	v_lshlrev_b64 v[0:1], 2, v[1:2]
	v_sub_u32_e32 v5, v9, v5
	v_add_co_u32_e32 v14, vcc, v3, v0
	v_addc_co_u32_e32 v4, vcc, v4, v1, vcc
	v_lshlrev_b32_e32 v0, 2, v5
	v_add_co_u32_e32 v0, vcc, v14, v0
	v_addc_co_u32_e32 v1, vcc, 0, v4, vcc
	v_pack_b32_f16 v2, v12, v22
	global_store_dword v[0:1], v2, off
	v_add_u32_e32 v2, 39, v9
	v_mul_hi_u32 v3, v2, s0
	v_fma_f16 v64, v50, s3, v63
	v_fma_f16 v49, v50, s4, v49
	;; [unrolled: 1-line block ×3, first 2 shown]
	v_sub_u32_e32 v12, v2, v3
	v_lshrrev_b32_e32 v12, 1, v12
	v_add_u32_e32 v3, v12, v3
	v_lshrrev_b32_e32 v3, 7, v3
	v_mul_lo_u32 v12, v3, s1
	v_fma_f16 v75, v71, s2, v75
	v_fma_f16 v49, v28, s2, v49
	;; [unrolled: 1-line block ×5, first 2 shown]
	v_sub_u32_e32 v2, v2, v12
	s_movk_i32 s2, 0x3cf
	v_mad_u64_u32 v[2:3], s[4:5], v3, s2, v[2:3]
	v_pack_b32_f16 v5, v25, v23
	global_store_dword v[0:1], v5, off offset:780
	v_pack_b32_f16 v5, v54, v53
	v_pack_b32_f16 v3, v49, v27
	global_store_dword v[0:1], v5, off offset:1560
	v_pack_b32_f16 v5, v64, v57
	global_store_dword v[0:1], v3, off offset:3120
	v_mov_b32_e32 v3, v6
	global_store_dword v[0:1], v5, off offset:2340
	v_lshlrev_b64 v[0:1], 2, v[2:3]
	v_pack_b32_f16 v3, v62, v59
	v_add_co_u32_e32 v0, vcc, v14, v0
	v_addc_co_u32_e32 v1, vcc, v4, v1, vcc
	v_add_u32_e32 v5, 0xc3, v2
	global_store_dword v[0:1], v3, off
	v_lshlrev_b64 v[0:1], 2, v[5:6]
	v_pack_b32_f16 v3, v56, v47
	v_add_co_u32_e32 v0, vcc, v14, v0
	v_addc_co_u32_e32 v1, vcc, v4, v1, vcc
	v_add_u32_e32 v5, 0x186, v2
	global_store_dword v[0:1], v3, off
	v_lshlrev_b64 v[0:1], 2, v[5:6]
	v_add_u32_e32 v12, 0x4e, v9
	v_mul_hi_u32 v16, v12, s0
	v_add_co_u32_e32 v0, vcc, v14, v0
	v_addc_co_u32_e32 v1, vcc, v4, v1, vcc
	v_pack_b32_f16 v3, v19, v24
	v_add_u32_e32 v5, 0x249, v2
	global_store_dword v[0:1], v3, off
	v_lshlrev_b64 v[0:1], 2, v[5:6]
	v_add_u32_e32 v5, 0x30c, v2
	v_sub_u32_e32 v2, v12, v16
	v_add_co_u32_e32 v0, vcc, v14, v0
	v_lshrrev_b32_e32 v2, 1, v2
	v_addc_co_u32_e32 v1, vcc, v4, v1, vcc
	v_pack_b32_f16 v3, v20, v42
	v_add_u32_e32 v2, v2, v16
	global_store_dword v[0:1], v3, off
	v_lshrrev_b32_e32 v3, 7, v2
	v_mul_lo_u32 v2, v3, s1
	v_lshlrev_b64 v[0:1], 2, v[5:6]
	v_add_co_u32_e32 v0, vcc, v14, v0
	v_sub_u32_e32 v2, v12, v2
	v_mad_u64_u32 v[2:3], s[4:5], v3, s2, v[2:3]
	v_addc_co_u32_e32 v1, vcc, v4, v1, vcc
	v_pack_b32_f16 v3, v21, v32
	global_store_dword v[0:1], v3, off
	v_mov_b32_e32 v3, v6
	v_lshlrev_b64 v[0:1], 2, v[2:3]
	v_pack_b32_f16 v3, v8, v39
	v_add_co_u32_e32 v0, vcc, v14, v0
	v_addc_co_u32_e32 v1, vcc, v4, v1, vcc
	v_add_u32_e32 v5, 0xc3, v2
	global_store_dword v[0:1], v3, off
	v_lshlrev_b64 v[0:1], 2, v[5:6]
	v_pack_b32_f16 v3, v7, v38
	v_add_co_u32_e32 v0, vcc, v14, v0
	v_addc_co_u32_e32 v1, vcc, v4, v1, vcc
	v_add_u32_e32 v5, 0x186, v2
	global_store_dword v[0:1], v3, off
	v_lshlrev_b64 v[0:1], 2, v[5:6]
	v_add_u32_e32 v7, 0x75, v9
	v_mul_hi_u32 v8, v7, s0
	v_add_co_u32_e32 v0, vcc, v14, v0
	v_addc_co_u32_e32 v1, vcc, v4, v1, vcc
	v_pack_b32_f16 v3, v41, v66
	v_add_u32_e32 v5, 0x249, v2
	global_store_dword v[0:1], v3, off
	v_lshlrev_b64 v[0:1], 2, v[5:6]
	v_add_u32_e32 v5, 0x30c, v2
	v_sub_u32_e32 v2, v7, v8
	v_add_co_u32_e32 v0, vcc, v14, v0
	v_lshrrev_b32_e32 v2, 1, v2
	v_addc_co_u32_e32 v1, vcc, v4, v1, vcc
	v_pack_b32_f16 v3, v75, v68
	v_add_u32_e32 v2, v2, v8
	global_store_dword v[0:1], v3, off
	v_lshrrev_b32_e32 v3, 7, v2
	v_mul_lo_u32 v2, v3, s1
	v_lshlrev_b64 v[0:1], 2, v[5:6]
	v_add_co_u32_e32 v0, vcc, v14, v0
	v_sub_u32_e32 v2, v7, v2
	v_mad_u64_u32 v[2:3], s[4:5], v3, s2, v[2:3]
	v_addc_co_u32_e32 v1, vcc, v4, v1, vcc
	v_pack_b32_f16 v3, v58, v52
	global_store_dword v[0:1], v3, off
	v_mov_b32_e32 v3, v6
	;; [unrolled: 39-line block ×3, first 2 shown]
	v_lshlrev_b64 v[0:1], 2, v[2:3]
	v_pack_b32_f16 v3, v40, v35
	v_add_co_u32_e32 v0, vcc, v14, v0
	v_addc_co_u32_e32 v1, vcc, v4, v1, vcc
	v_add_u32_e32 v5, 0xc3, v2
	global_store_dword v[0:1], v3, off
	v_lshlrev_b64 v[0:1], 2, v[5:6]
	v_pack_b32_f16 v3, v36, v33
	v_add_co_u32_e32 v0, vcc, v14, v0
	v_addc_co_u32_e32 v1, vcc, v4, v1, vcc
	v_add_u32_e32 v5, 0x186, v2
	global_store_dword v[0:1], v3, off
	;; [unrolled: 6-line block ×4, first 2 shown]
	v_lshlrev_b64 v[0:1], 2, v[5:6]
	v_pack_b32_f16 v2, v31, v11
	v_add_co_u32_e32 v0, vcc, v14, v0
	v_addc_co_u32_e32 v1, vcc, v4, v1, vcc
	global_store_dword v[0:1], v2, off
.LBB0_28:
	s_endpgm
	.section	.rodata,"a",@progbits
	.p2align	6, 0x0
	.amdhsa_kernel fft_rtc_back_len975_factors_13_5_3_5_wgs_117_tpt_39_halfLds_half_op_CI_CI_unitstride_sbrr_dirReg
		.amdhsa_group_segment_fixed_size 0
		.amdhsa_private_segment_fixed_size 0
		.amdhsa_kernarg_size 104
		.amdhsa_user_sgpr_count 6
		.amdhsa_user_sgpr_private_segment_buffer 1
		.amdhsa_user_sgpr_dispatch_ptr 0
		.amdhsa_user_sgpr_queue_ptr 0
		.amdhsa_user_sgpr_kernarg_segment_ptr 1
		.amdhsa_user_sgpr_dispatch_id 0
		.amdhsa_user_sgpr_flat_scratch_init 0
		.amdhsa_user_sgpr_private_segment_size 0
		.amdhsa_uses_dynamic_stack 0
		.amdhsa_system_sgpr_private_segment_wavefront_offset 0
		.amdhsa_system_sgpr_workgroup_id_x 1
		.amdhsa_system_sgpr_workgroup_id_y 0
		.amdhsa_system_sgpr_workgroup_id_z 0
		.amdhsa_system_sgpr_workgroup_info 0
		.amdhsa_system_vgpr_workitem_id 0
		.amdhsa_next_free_vgpr 116
		.amdhsa_next_free_sgpr 53
		.amdhsa_reserve_vcc 1
		.amdhsa_reserve_flat_scratch 0
		.amdhsa_float_round_mode_32 0
		.amdhsa_float_round_mode_16_64 0
		.amdhsa_float_denorm_mode_32 3
		.amdhsa_float_denorm_mode_16_64 3
		.amdhsa_dx10_clamp 1
		.amdhsa_ieee_mode 1
		.amdhsa_fp16_overflow 0
		.amdhsa_exception_fp_ieee_invalid_op 0
		.amdhsa_exception_fp_denorm_src 0
		.amdhsa_exception_fp_ieee_div_zero 0
		.amdhsa_exception_fp_ieee_overflow 0
		.amdhsa_exception_fp_ieee_underflow 0
		.amdhsa_exception_fp_ieee_inexact 0
		.amdhsa_exception_int_div_zero 0
	.end_amdhsa_kernel
	.text
.Lfunc_end0:
	.size	fft_rtc_back_len975_factors_13_5_3_5_wgs_117_tpt_39_halfLds_half_op_CI_CI_unitstride_sbrr_dirReg, .Lfunc_end0-fft_rtc_back_len975_factors_13_5_3_5_wgs_117_tpt_39_halfLds_half_op_CI_CI_unitstride_sbrr_dirReg
                                        ; -- End function
	.section	.AMDGPU.csdata,"",@progbits
; Kernel info:
; codeLenInByte = 16888
; NumSgprs: 57
; NumVgprs: 116
; ScratchSize: 0
; MemoryBound: 0
; FloatMode: 240
; IeeeMode: 1
; LDSByteSize: 0 bytes/workgroup (compile time only)
; SGPRBlocks: 7
; VGPRBlocks: 28
; NumSGPRsForWavesPerEU: 57
; NumVGPRsForWavesPerEU: 116
; Occupancy: 2
; WaveLimiterHint : 1
; COMPUTE_PGM_RSRC2:SCRATCH_EN: 0
; COMPUTE_PGM_RSRC2:USER_SGPR: 6
; COMPUTE_PGM_RSRC2:TRAP_HANDLER: 0
; COMPUTE_PGM_RSRC2:TGID_X_EN: 1
; COMPUTE_PGM_RSRC2:TGID_Y_EN: 0
; COMPUTE_PGM_RSRC2:TGID_Z_EN: 0
; COMPUTE_PGM_RSRC2:TIDIG_COMP_CNT: 0
	.type	__hip_cuid_3624e11b320b6da2,@object ; @__hip_cuid_3624e11b320b6da2
	.section	.bss,"aw",@nobits
	.globl	__hip_cuid_3624e11b320b6da2
__hip_cuid_3624e11b320b6da2:
	.byte	0                               ; 0x0
	.size	__hip_cuid_3624e11b320b6da2, 1

	.ident	"AMD clang version 19.0.0git (https://github.com/RadeonOpenCompute/llvm-project roc-6.4.0 25133 c7fe45cf4b819c5991fe208aaa96edf142730f1d)"
	.section	".note.GNU-stack","",@progbits
	.addrsig
	.addrsig_sym __hip_cuid_3624e11b320b6da2
	.amdgpu_metadata
---
amdhsa.kernels:
  - .args:
      - .actual_access:  read_only
        .address_space:  global
        .offset:         0
        .size:           8
        .value_kind:     global_buffer
      - .offset:         8
        .size:           8
        .value_kind:     by_value
      - .actual_access:  read_only
        .address_space:  global
        .offset:         16
        .size:           8
        .value_kind:     global_buffer
      - .actual_access:  read_only
        .address_space:  global
        .offset:         24
        .size:           8
        .value_kind:     global_buffer
      - .actual_access:  read_only
        .address_space:  global
        .offset:         32
        .size:           8
        .value_kind:     global_buffer
      - .offset:         40
        .size:           8
        .value_kind:     by_value
      - .actual_access:  read_only
        .address_space:  global
        .offset:         48
        .size:           8
        .value_kind:     global_buffer
      - .actual_access:  read_only
        .address_space:  global
        .offset:         56
        .size:           8
        .value_kind:     global_buffer
      - .offset:         64
        .size:           4
        .value_kind:     by_value
      - .actual_access:  read_only
        .address_space:  global
        .offset:         72
        .size:           8
        .value_kind:     global_buffer
      - .actual_access:  read_only
        .address_space:  global
        .offset:         80
        .size:           8
        .value_kind:     global_buffer
      - .actual_access:  read_only
        .address_space:  global
        .offset:         88
        .size:           8
        .value_kind:     global_buffer
      - .actual_access:  write_only
        .address_space:  global
        .offset:         96
        .size:           8
        .value_kind:     global_buffer
    .group_segment_fixed_size: 0
    .kernarg_segment_align: 8
    .kernarg_segment_size: 104
    .language:       OpenCL C
    .language_version:
      - 2
      - 0
    .max_flat_workgroup_size: 117
    .name:           fft_rtc_back_len975_factors_13_5_3_5_wgs_117_tpt_39_halfLds_half_op_CI_CI_unitstride_sbrr_dirReg
    .private_segment_fixed_size: 0
    .sgpr_count:     57
    .sgpr_spill_count: 0
    .symbol:         fft_rtc_back_len975_factors_13_5_3_5_wgs_117_tpt_39_halfLds_half_op_CI_CI_unitstride_sbrr_dirReg.kd
    .uniform_work_group_size: 1
    .uses_dynamic_stack: false
    .vgpr_count:     116
    .vgpr_spill_count: 0
    .wavefront_size: 64
amdhsa.target:   amdgcn-amd-amdhsa--gfx906
amdhsa.version:
  - 1
  - 2
...

	.end_amdgpu_metadata
